;; amdgpu-corpus repo=ROCm/rocFFT kind=compiled arch=gfx950 opt=O3
	.text
	.amdgcn_target "amdgcn-amd-amdhsa--gfx950"
	.amdhsa_code_object_version 6
	.protected	bluestein_single_fwd_len182_dim1_half_op_CI_CI ; -- Begin function bluestein_single_fwd_len182_dim1_half_op_CI_CI
	.globl	bluestein_single_fwd_len182_dim1_half_op_CI_CI
	.p2align	8
	.type	bluestein_single_fwd_len182_dim1_half_op_CI_CI,@function
bluestein_single_fwd_len182_dim1_half_op_CI_CI: ; @bluestein_single_fwd_len182_dim1_half_op_CI_CI
; %bb.0:
	s_load_dwordx4 s[12:15], s[0:1], 0x28
	v_mul_u32_u24_e32 v1, 0x13b2, v0
	v_lshrrev_b32_e32 v2, 16, v1
	v_mov_b32_e32 v13, 0
	v_lshl_add_u32 v10, s2, 2, v2
	v_mov_b32_e32 v11, v13
	s_waitcnt lgkmcnt(0)
	v_cmp_gt_u64_e32 vcc, s[12:13], v[10:11]
	s_and_saveexec_b64 s[2:3], vcc
	s_cbranch_execz .LBB0_15
; %bb.1:
	s_load_dwordx4 s[8:11], s[0:1], 0x18
	s_load_dwordx2 s[12:13], s[0:1], 0x0
	v_mul_lo_u16_e32 v1, 13, v2
	v_sub_u16_e32 v8, v0, v1
	v_mov_b32_e32 v4, s14
	s_waitcnt lgkmcnt(0)
	s_load_dwordx4 s[4:7], s[8:9], 0x0
	v_mov_b32_e32 v5, s15
	v_or_b32_e32 v44, 0x70, v8
	v_mov_b32_e32 v3, 0x70
	v_and_b32_e32 v2, 3, v2
	s_waitcnt lgkmcnt(0)
	v_mad_u64_u32 v[0:1], s[2:3], s6, v10, 0
	v_mov_b32_e32 v6, v1
	v_mad_u64_u32 v[6:7], s[2:3], s7, v10, v[6:7]
	v_mov_b32_e32 v1, v6
	;; [unrolled: 2-line block ×4, first 2 shown]
	v_lshl_add_u64 v[0:1], v[0:1], 2, v[4:5]
	v_lshl_add_u64 v[4:5], v[6:7], 2, v[0:1]
	global_load_dword v16, v[4:5], off
	v_lshlrev_b32_e32 v12, 2, v8
	global_load_dword v53, v12, s[12:13]
	v_mad_u64_u32 v[4:5], s[2:3], s4, 56, v[4:5]
	s_mul_i32 s14, s5, 56
	v_add_u32_e32 v5, s14, v5
	global_load_dword v17, v[4:5], off
	global_load_dword v52, v12, s[12:13] offset:56
	v_mad_u64_u32 v[4:5], s[2:3], s4, 56, v[4:5]
	v_add_u32_e32 v5, s14, v5
	global_load_dword v18, v[4:5], off
	global_load_dword v51, v12, s[12:13] offset:112
	v_mad_u64_u32 v[4:5], s[2:3], s4, 56, v[4:5]
	;; [unrolled: 4-line block ×5, first 2 shown]
	v_add_u32_e32 v5, s14, v5
	global_load_dword v22, v[4:5], off
	global_load_dword v47, v12, s[12:13] offset:336
	global_load_dword v46, v12, s[12:13] offset:392
	v_mad_u64_u32 v[4:5], s[6:7], s4, 56, v[4:5]
	v_add_u32_e32 v5, s14, v5
	global_load_dword v23, v[4:5], off
	v_mad_u64_u32 v[6:7], s[6:7], s4, v44, 0
	v_mov_b32_e32 v14, v7
	v_mad_u64_u32 v[14:15], s[6:7], s5, v44, v[14:15]
	v_mov_b32_e32 v7, v14
	v_lshl_add_u64 v[6:7], v[6:7], 2, v[0:1]
	global_load_dword v14, v[6:7], off
	global_load_dword v45, v12, s[12:13] offset:448
	s_mul_i32 s8, s5, 0x70
	v_mad_u64_u32 v[4:5], s[6:7], s4, v3, v[4:5]
	v_add_u32_e32 v5, s8, v5
	global_load_dword v6, v[4:5], off
	global_load_dword v43, v12, s[12:13] offset:504
	v_mul_u32_u24_e32 v30, 0xb6, v2
	v_mad_u64_u32 v[2:3], s[6:7], s4, 56, v[4:5]
	v_add_u32_e32 v3, s14, v3
	global_load_dword v4, v[2:3], off
	global_load_dword v42, v12, s[12:13] offset:560
	v_mad_u64_u32 v[2:3], s[6:7], s4, 56, v[2:3]
	v_add_u32_e32 v3, s14, v3
	s_load_dwordx4 s[8:11], s[10:11], 0x0
	global_load_dword v5, v[2:3], off
	global_load_dword v41, v12, s[12:13] offset:616
	global_load_dword v11, v12, s[12:13] offset:672
	v_mad_u64_u32 v[2:3], s[6:7], s4, 56, v[2:3]
	v_add_u32_e32 v3, s14, v3
	global_load_dword v2, v[2:3], off
	v_lshlrev_b32_e32 v9, 2, v30
	v_add_u32_e32 v40, v9, v12
	s_load_dwordx2 s[2:3], s[0:1], 0x38
	v_cmp_eq_u16_e32 vcc, 0, v8
	s_waitcnt vmcnt(25)
	v_lshrrev_b32_e32 v3, 16, v16
	s_waitcnt vmcnt(24)
	v_mul_f16_sdwa v7, v53, v3 dst_sel:DWORD dst_unused:UNUSED_PAD src0_sel:WORD_1 src1_sel:DWORD
	v_mul_f16_sdwa v15, v53, v16 dst_sel:DWORD dst_unused:UNUSED_PAD src0_sel:WORD_1 src1_sel:DWORD
	v_fma_f16 v7, v53, v16, v7
	v_fma_f16 v3, v53, v3, -v15
	v_pack_b32_f16 v3, v7, v3
	s_waitcnt vmcnt(23)
	v_lshrrev_b32_e32 v7, 16, v17
	s_waitcnt vmcnt(22)
	v_mul_f16_sdwa v15, v52, v7 dst_sel:DWORD dst_unused:UNUSED_PAD src0_sel:WORD_1 src1_sel:DWORD
	v_mul_f16_sdwa v16, v52, v17 dst_sel:DWORD dst_unused:UNUSED_PAD src0_sel:WORD_1 src1_sel:DWORD
	v_fma_f16 v15, v52, v17, v15
	v_fma_f16 v7, v52, v7, -v16
	v_pack_b32_f16 v7, v15, v7
	ds_write2_b32 v40, v3, v7 offset1:14
	s_waitcnt vmcnt(21)
	v_lshrrev_b32_e32 v3, 16, v18
	s_waitcnt vmcnt(20)
	v_mul_f16_sdwa v7, v51, v3 dst_sel:DWORD dst_unused:UNUSED_PAD src0_sel:WORD_1 src1_sel:DWORD
	v_mul_f16_sdwa v15, v51, v18 dst_sel:DWORD dst_unused:UNUSED_PAD src0_sel:WORD_1 src1_sel:DWORD
	v_fma_f16 v7, v51, v18, v7
	v_fma_f16 v3, v51, v3, -v15
	v_pack_b32_f16 v3, v7, v3
	s_waitcnt vmcnt(19)
	v_lshrrev_b32_e32 v7, 16, v19
	s_waitcnt vmcnt(18)
	v_mul_f16_sdwa v15, v50, v7 dst_sel:DWORD dst_unused:UNUSED_PAD src0_sel:WORD_1 src1_sel:DWORD
	v_mul_f16_sdwa v16, v50, v19 dst_sel:DWORD dst_unused:UNUSED_PAD src0_sel:WORD_1 src1_sel:DWORD
	v_fma_f16 v15, v50, v19, v15
	v_fma_f16 v7, v50, v7, -v16
	v_pack_b32_f16 v7, v15, v7
	ds_write2_b32 v40, v3, v7 offset0:28 offset1:42
	s_waitcnt vmcnt(17)
	v_lshrrev_b32_e32 v3, 16, v20
	s_waitcnt vmcnt(16)
	v_mul_f16_sdwa v7, v49, v3 dst_sel:DWORD dst_unused:UNUSED_PAD src0_sel:WORD_1 src1_sel:DWORD
	v_mul_f16_sdwa v15, v49, v20 dst_sel:DWORD dst_unused:UNUSED_PAD src0_sel:WORD_1 src1_sel:DWORD
	v_fma_f16 v7, v49, v20, v7
	v_fma_f16 v3, v49, v3, -v15
	v_pack_b32_f16 v3, v7, v3
	s_waitcnt vmcnt(15)
	v_lshrrev_b32_e32 v7, 16, v21
	s_waitcnt vmcnt(14)
	v_mul_f16_sdwa v15, v48, v7 dst_sel:DWORD dst_unused:UNUSED_PAD src0_sel:WORD_1 src1_sel:DWORD
	v_mul_f16_sdwa v16, v48, v21 dst_sel:DWORD dst_unused:UNUSED_PAD src0_sel:WORD_1 src1_sel:DWORD
	v_fma_f16 v15, v48, v21, v15
	v_fma_f16 v7, v48, v7, -v16
	v_pack_b32_f16 v7, v15, v7
	ds_write2_b32 v40, v3, v7 offset0:56 offset1:70
	s_waitcnt vmcnt(13)
	v_lshrrev_b32_e32 v3, 16, v22
	s_waitcnt vmcnt(12)
	v_mul_f16_sdwa v7, v47, v3 dst_sel:DWORD dst_unused:UNUSED_PAD src0_sel:WORD_1 src1_sel:DWORD
	v_mul_f16_sdwa v15, v47, v22 dst_sel:DWORD dst_unused:UNUSED_PAD src0_sel:WORD_1 src1_sel:DWORD
	v_fma_f16 v7, v47, v22, v7
	v_fma_f16 v3, v47, v3, -v15
	v_pack_b32_f16 v3, v7, v3
	s_waitcnt vmcnt(10)
	v_lshrrev_b32_e32 v7, 16, v23
	v_mul_f16_sdwa v15, v46, v7 dst_sel:DWORD dst_unused:UNUSED_PAD src0_sel:WORD_1 src1_sel:DWORD
	v_mul_f16_sdwa v16, v46, v23 dst_sel:DWORD dst_unused:UNUSED_PAD src0_sel:WORD_1 src1_sel:DWORD
	v_fma_f16 v15, v46, v23, v15
	v_fma_f16 v7, v46, v7, -v16
	v_pack_b32_f16 v7, v15, v7
	ds_write2_b32 v40, v3, v7 offset0:84 offset1:98
	s_waitcnt vmcnt(9)
	v_lshrrev_b32_e32 v3, 16, v14
	s_waitcnt vmcnt(8)
	v_mul_f16_sdwa v7, v45, v3 dst_sel:DWORD dst_unused:UNUSED_PAD src0_sel:WORD_1 src1_sel:DWORD
	v_fma_f16 v7, v45, v14, v7
	v_mul_f16_sdwa v14, v45, v14 dst_sel:DWORD dst_unused:UNUSED_PAD src0_sel:WORD_1 src1_sel:DWORD
	v_fma_f16 v3, v45, v3, -v14
	v_pack_b32_f16 v3, v7, v3
	s_waitcnt vmcnt(7)
	v_lshrrev_b32_e32 v7, 16, v6
	s_waitcnt vmcnt(6)
	v_mul_f16_sdwa v14, v43, v7 dst_sel:DWORD dst_unused:UNUSED_PAD src0_sel:WORD_1 src1_sel:DWORD
	v_fma_f16 v14, v43, v6, v14
	v_mul_f16_sdwa v6, v43, v6 dst_sel:DWORD dst_unused:UNUSED_PAD src0_sel:WORD_1 src1_sel:DWORD
	v_fma_f16 v6, v43, v7, -v6
	v_pack_b32_f16 v6, v14, v6
	ds_write2_b32 v40, v3, v6 offset0:112 offset1:126
	s_waitcnt vmcnt(5)
	v_lshrrev_b32_e32 v3, 16, v4
	s_waitcnt vmcnt(4)
	v_mul_f16_sdwa v6, v42, v3 dst_sel:DWORD dst_unused:UNUSED_PAD src0_sel:WORD_1 src1_sel:DWORD
	v_fma_f16 v6, v42, v4, v6
	v_mul_f16_sdwa v4, v42, v4 dst_sel:DWORD dst_unused:UNUSED_PAD src0_sel:WORD_1 src1_sel:DWORD
	v_fma_f16 v3, v42, v3, -v4
	s_waitcnt vmcnt(3)
	v_lshrrev_b32_e32 v4, 16, v5
	v_pack_b32_f16 v3, v6, v3
	s_waitcnt vmcnt(2)
	v_mul_f16_sdwa v6, v41, v4 dst_sel:DWORD dst_unused:UNUSED_PAD src0_sel:WORD_1 src1_sel:DWORD
	v_fma_f16 v6, v41, v5, v6
	v_mul_f16_sdwa v5, v41, v5 dst_sel:DWORD dst_unused:UNUSED_PAD src0_sel:WORD_1 src1_sel:DWORD
	v_fma_f16 v4, v41, v4, -v5
	v_pack_b32_f16 v4, v6, v4
	ds_write2_b32 v40, v3, v4 offset0:140 offset1:154
	s_waitcnt vmcnt(0)
	v_lshrrev_b32_e32 v3, 16, v2
	v_mul_f16_sdwa v4, v11, v3 dst_sel:DWORD dst_unused:UNUSED_PAD src0_sel:WORD_1 src1_sel:DWORD
	v_fma_f16 v4, v11, v2, v4
	v_mul_f16_sdwa v2, v11, v2 dst_sel:DWORD dst_unused:UNUSED_PAD src0_sel:WORD_1 src1_sel:DWORD
	v_fma_f16 v2, v11, v3, -v2
	v_pack_b32_f16 v2, v4, v2
	ds_write_b32 v40, v2 offset:672
	s_and_saveexec_b64 s[6:7], vcc
	s_cbranch_execz .LBB0_3
; %bb.2:
	v_mad_u64_u32 v[2:3], s[14:15], s4, 52, v[0:1]
	v_mov_b32_e32 v4, v3
	v_mad_u64_u32 v[4:5], s[14:15], s5, 52, v[4:5]
	v_mov_b32_e32 v3, v4
	global_load_dword v6, v[2:3], off
	v_mov_b32_e32 v2, 0x6c
	v_mov_b32_e32 v7, 0
	v_mad_u64_u32 v[2:3], s[14:15], s4, v2, v[0:1]
	s_mul_i32 s14, s5, 0x6c
	global_load_dword v14, v7, s[12:13] offset:52
	global_load_dword v15, v7, s[12:13] offset:108
	v_add_u32_e32 v3, s14, v3
	v_mov_b32_e32 v4, 0xa4
	v_mad_u64_u32 v[4:5], s[14:15], s4, v4, v[0:1]
	global_load_dword v16, v[2:3], off
	s_mul_i32 s14, s5, 0xa4
	v_add_u32_e32 v5, s14, v5
	global_load_dword v17, v[4:5], off
	v_mov_b32_e32 v2, 0xdc
	v_mad_u64_u32 v[2:3], s[14:15], s4, v2, v[0:1]
	s_mul_i32 s14, s5, 0xdc
	s_nop 0
	v_add_u32_e32 v3, s14, v3
	global_load_dword v18, v7, s[12:13] offset:164
	global_load_dword v19, v7, s[12:13] offset:220
	v_mov_b32_e32 v4, 0x114
	global_load_dword v20, v[2:3], off
	v_mad_u64_u32 v[4:5], s[14:15], s4, v4, v[0:1]
	s_mul_i32 s14, s5, 0x114
	s_nop 0
	v_add_u32_e32 v5, s14, v5
	global_load_dword v4, v[4:5], off
	v_mov_b32_e32 v2, 0x14c
	v_mad_u64_u32 v[2:3], s[14:15], s4, v2, v[0:1]
	global_load_dword v5, v7, s[12:13] offset:276
	global_load_dword v21, v7, s[12:13] offset:332
	;; [unrolled: 1-line block ×4, first 2 shown]
	s_mul_i32 s14, s5, 0x14c
	v_add_u32_e32 v3, s14, v3
	v_mov_b32_e32 v22, 0x184
	global_load_dword v23, v[2:3], off
	v_mad_u64_u32 v[2:3], s[14:15], s4, v22, v[0:1]
	s_mul_i32 s14, s5, 0x184
	s_nop 0
	v_add_u32_e32 v3, s14, v3
	global_load_dword v22, v[2:3], off
	v_mov_b32_e32 v2, 0x1bc
	v_mad_u64_u32 v[2:3], s[14:15], s4, v2, v[0:1]
	s_mul_i32 s14, s5, 0x1bc
	s_nop 0
	v_add_u32_e32 v3, s14, v3
	v_mov_b32_e32 v26, 0x1f4
	global_load_dword v27, v[2:3], off
	v_mad_u64_u32 v[2:3], s[14:15], s4, v26, v[0:1]
	global_load_dword v26, v7, s[12:13] offset:500
	global_load_dword v31, v7, s[12:13] offset:556
	s_mul_i32 s14, s5, 0x1f4
	v_add_u32_e32 v3, s14, v3
	v_mov_b32_e32 v28, 0x22c
	global_load_dword v29, v[2:3], off
	v_mad_u64_u32 v[2:3], s[14:15], s4, v28, v[0:1]
	s_mul_i32 s14, s5, 0x22c
	s_nop 0
	v_add_u32_e32 v3, s14, v3
	global_load_dword v28, v[2:3], off
	v_mov_b32_e32 v2, 0x264
	v_mad_u64_u32 v[2:3], s[14:15], s4, v2, v[0:1]
	s_mul_i32 s14, s5, 0x264
	s_nop 0
	v_add_u32_e32 v3, s14, v3
	global_load_dword v32, v7, s[12:13] offset:612
	global_load_dword v33, v[2:3], off
	v_mov_b32_e32 v2, 0x29c
	v_mad_u64_u32 v[2:3], s[14:15], s4, v2, v[0:1]
	s_mul_i32 s14, s5, 0x29c
	s_nop 0
	v_add_u32_e32 v3, s14, v3
	global_load_dword v34, v[2:3], off
	global_load_dword v35, v7, s[12:13] offset:668
	v_mov_b32_e32 v2, 0x2d4
	v_mad_u64_u32 v[0:1], s[14:15], s4, v2, v[0:1]
	s_mul_i32 s4, s5, 0x2d4
	v_add_u32_e32 v1, s4, v1
	global_load_dword v2, v[0:1], off
	global_load_dword v3, v7, s[12:13] offset:724
	s_waitcnt vmcnt(25)
	v_lshrrev_b32_e32 v0, 16, v6
	s_waitcnt vmcnt(24)
	v_mul_f16_sdwa v1, v14, v0 dst_sel:DWORD dst_unused:UNUSED_PAD src0_sel:WORD_1 src1_sel:DWORD
	v_fma_f16 v1, v14, v6, v1
	v_mul_f16_sdwa v6, v14, v6 dst_sel:DWORD dst_unused:UNUSED_PAD src0_sel:WORD_1 src1_sel:DWORD
	v_fma_f16 v0, v14, v0, -v6
	v_pack_b32_f16 v0, v1, v0
	s_waitcnt vmcnt(22)
	v_lshrrev_b32_e32 v1, 16, v16
	v_mul_f16_sdwa v6, v15, v1 dst_sel:DWORD dst_unused:UNUSED_PAD src0_sel:WORD_1 src1_sel:DWORD
	v_mul_f16_sdwa v7, v15, v16 dst_sel:DWORD dst_unused:UNUSED_PAD src0_sel:WORD_1 src1_sel:DWORD
	v_fma_f16 v6, v15, v16, v6
	v_fma_f16 v1, v15, v1, -v7
	v_pack_b32_f16 v1, v6, v1
	ds_write2_b32 v9, v0, v1 offset0:13 offset1:27
	s_waitcnt vmcnt(21)
	v_lshrrev_b32_e32 v0, 16, v17
	s_waitcnt vmcnt(20)
	v_mul_f16_sdwa v1, v18, v0 dst_sel:DWORD dst_unused:UNUSED_PAD src0_sel:WORD_1 src1_sel:DWORD
	v_mul_f16_sdwa v6, v18, v17 dst_sel:DWORD dst_unused:UNUSED_PAD src0_sel:WORD_1 src1_sel:DWORD
	v_fma_f16 v1, v18, v17, v1
	v_fma_f16 v0, v18, v0, -v6
	v_pack_b32_f16 v0, v1, v0
	s_waitcnt vmcnt(18)
	v_lshrrev_b32_e32 v1, 16, v20
	v_mul_f16_sdwa v6, v19, v1 dst_sel:DWORD dst_unused:UNUSED_PAD src0_sel:WORD_1 src1_sel:DWORD
	v_mul_f16_sdwa v7, v19, v20 dst_sel:DWORD dst_unused:UNUSED_PAD src0_sel:WORD_1 src1_sel:DWORD
	v_fma_f16 v6, v19, v20, v6
	v_fma_f16 v1, v19, v1, -v7
	v_pack_b32_f16 v1, v6, v1
	ds_write2_b32 v9, v0, v1 offset0:41 offset1:55
	s_waitcnt vmcnt(17)
	v_lshrrev_b32_e32 v0, 16, v4
	s_waitcnt vmcnt(16)
	v_mul_f16_sdwa v1, v5, v0 dst_sel:DWORD dst_unused:UNUSED_PAD src0_sel:WORD_1 src1_sel:DWORD
	v_fma_f16 v1, v5, v4, v1
	v_mul_f16_sdwa v4, v5, v4 dst_sel:DWORD dst_unused:UNUSED_PAD src0_sel:WORD_1 src1_sel:DWORD
	v_fma_f16 v0, v5, v0, -v4
	v_pack_b32_f16 v0, v1, v0
	s_waitcnt vmcnt(12)
	v_lshrrev_b32_e32 v1, 16, v23
	v_mul_f16_sdwa v4, v21, v1 dst_sel:DWORD dst_unused:UNUSED_PAD src0_sel:WORD_1 src1_sel:DWORD
	v_mul_f16_sdwa v5, v21, v23 dst_sel:DWORD dst_unused:UNUSED_PAD src0_sel:WORD_1 src1_sel:DWORD
	v_fma_f16 v4, v21, v23, v4
	v_fma_f16 v1, v21, v1, -v5
	v_pack_b32_f16 v1, v4, v1
	ds_write2_b32 v9, v0, v1 offset0:69 offset1:83
	s_waitcnt vmcnt(11)
	v_lshrrev_b32_e32 v0, 16, v22
	v_mul_f16_sdwa v1, v24, v0 dst_sel:DWORD dst_unused:UNUSED_PAD src0_sel:WORD_1 src1_sel:DWORD
	v_mul_f16_sdwa v4, v24, v22 dst_sel:DWORD dst_unused:UNUSED_PAD src0_sel:WORD_1 src1_sel:DWORD
	v_fma_f16 v1, v24, v22, v1
	v_fma_f16 v0, v24, v0, -v4
	v_pack_b32_f16 v0, v1, v0
	s_waitcnt vmcnt(10)
	v_lshrrev_b32_e32 v1, 16, v27
	v_mul_f16_sdwa v4, v25, v1 dst_sel:DWORD dst_unused:UNUSED_PAD src0_sel:WORD_1 src1_sel:DWORD
	v_mul_f16_sdwa v5, v25, v27 dst_sel:DWORD dst_unused:UNUSED_PAD src0_sel:WORD_1 src1_sel:DWORD
	v_fma_f16 v4, v25, v27, v4
	v_fma_f16 v1, v25, v1, -v5
	v_pack_b32_f16 v1, v4, v1
	ds_write2_b32 v9, v0, v1 offset0:97 offset1:111
	s_waitcnt vmcnt(7)
	v_lshrrev_b32_e32 v0, 16, v29
	v_mul_f16_sdwa v1, v26, v0 dst_sel:DWORD dst_unused:UNUSED_PAD src0_sel:WORD_1 src1_sel:DWORD
	v_mul_f16_sdwa v4, v26, v29 dst_sel:DWORD dst_unused:UNUSED_PAD src0_sel:WORD_1 src1_sel:DWORD
	v_fma_f16 v1, v26, v29, v1
	;; [unrolled: 15-line block ×3, first 2 shown]
	v_fma_f16 v0, v32, v0, -v4
	v_pack_b32_f16 v0, v1, v0
	s_waitcnt vmcnt(3)
	v_lshrrev_b32_e32 v1, 16, v34
	s_waitcnt vmcnt(2)
	v_mul_f16_sdwa v4, v35, v1 dst_sel:DWORD dst_unused:UNUSED_PAD src0_sel:WORD_1 src1_sel:DWORD
	v_mul_f16_sdwa v5, v35, v34 dst_sel:DWORD dst_unused:UNUSED_PAD src0_sel:WORD_1 src1_sel:DWORD
	v_fma_f16 v4, v35, v34, v4
	v_fma_f16 v1, v35, v1, -v5
	v_pack_b32_f16 v1, v4, v1
	ds_write2_b32 v9, v0, v1 offset0:153 offset1:167
	s_waitcnt vmcnt(1)
	v_lshrrev_b32_e32 v0, 16, v2
	s_waitcnt vmcnt(0)
	v_mul_f16_sdwa v1, v3, v0 dst_sel:DWORD dst_unused:UNUSED_PAD src0_sel:WORD_1 src1_sel:DWORD
	v_fma_f16 v1, v3, v2, v1
	v_mul_f16_sdwa v2, v3, v2 dst_sel:DWORD dst_unused:UNUSED_PAD src0_sel:WORD_1 src1_sel:DWORD
	v_fma_f16 v0, v3, v0, -v2
	v_pack_b32_f16 v0, v1, v0
	ds_write_b32 v9, v0 offset:724
.LBB0_3:
	s_or_b64 exec, exec, s[6:7]
	s_waitcnt lgkmcnt(0)
	; wave barrier
	s_waitcnt lgkmcnt(0)
	ds_read2_b32 v[14:15], v40 offset1:14
	ds_read2_b32 v[20:21], v40 offset0:28 offset1:42
	ds_read2_b32 v[16:17], v40 offset0:56 offset1:70
	;; [unrolled: 1-line block ×5, first 2 shown]
	ds_read_b32 v32, v40 offset:672
	s_load_dwordx2 s[0:1], s[0:1], 0x8
	v_mov_b32_e32 v0, 0
                                        ; implicit-def: $vgpr3
                                        ; implicit-def: $vgpr6
                                        ; implicit-def: $vgpr5
                                        ; implicit-def: $vgpr26
                                        ; implicit-def: $vgpr25
                                        ; implicit-def: $vgpr31
	s_and_saveexec_b64 s[4:5], vcc
	s_cbranch_execz .LBB0_5
; %bb.4:
	ds_read2_b32 v[0:1], v9 offset0:13 offset1:27
	ds_read2_b32 v[24:25], v9 offset0:41 offset1:55
	;; [unrolled: 1-line block ×6, first 2 shown]
	ds_read_b32 v31, v9 offset:724
.LBB0_5:
	s_or_b64 exec, exec, s[4:5]
	s_waitcnt lgkmcnt(0)
	v_add_f16_e32 v33, v14, v15
	v_add_f16_e32 v33, v33, v20
	v_add_f16_sdwa v34, v14, v15 dst_sel:DWORD dst_unused:UNUSED_PAD src0_sel:WORD_1 src1_sel:WORD_1
	v_add_f16_e32 v33, v33, v21
	v_add_f16_sdwa v34, v34, v20 dst_sel:DWORD dst_unused:UNUSED_PAD src0_sel:DWORD src1_sel:WORD_1
	v_add_f16_e32 v33, v33, v16
	v_add_f16_sdwa v34, v34, v21 dst_sel:DWORD dst_unused:UNUSED_PAD src0_sel:DWORD src1_sel:WORD_1
	;; [unrolled: 2-line block ×7, first 2 shown]
	v_add_f16_e32 v33, v33, v28
	v_add_f16_e32 v63, v32, v15
	v_add_f16_sdwa v64, v32, v15 dst_sel:DWORD dst_unused:UNUSED_PAD src0_sel:WORD_1 src1_sel:WORD_1
	v_sub_f16_e32 v65, v15, v32
	v_sub_f16_sdwa v15, v15, v32 dst_sel:DWORD dst_unused:UNUSED_PAD src0_sel:WORD_1 src1_sel:WORD_1
	v_add_f16_sdwa v34, v34, v19 dst_sel:DWORD dst_unused:UNUSED_PAD src0_sel:DWORD src1_sel:WORD_1
	v_add_f16_e32 v54, v33, v29
	v_mul_f16_e32 v33, 0xb770, v15
	s_movk_i32 s5, 0x3b15
	v_add_f16_sdwa v34, v34, v28 dst_sel:DWORD dst_unused:UNUSED_PAD src0_sel:DWORD src1_sel:WORD_1
	v_fma_f16 v66, v63, s5, -v33
	v_fma_f16 v68, v63, s5, v33
	v_mul_f16_e32 v33, 0xba95, v15
	s_movk_i32 s6, 0x388b
	v_add_f16_sdwa v62, v34, v29 dst_sel:DWORD dst_unused:UNUSED_PAD src0_sel:DWORD src1_sel:WORD_1
	v_mul_f16_e32 v34, 0xb770, v65
	v_fma_f16 v70, v63, s6, -v33
	v_fma_f16 v72, v63, s6, v33
	v_mul_f16_e32 v33, 0xbbf1, v15
	s_movk_i32 s4, 0x2fb7
	v_fma_f16 v67, v64, s5, v34
	v_fma_f16 v69, v64, s5, -v34
	v_mul_f16_e32 v34, 0xba95, v65
	v_fma_f16 v74, v63, s4, -v33
	v_fma_f16 v75, v63, s4, v33
	v_mul_f16_e32 v33, 0xbb7b, v15
	s_mov_b32 s7, 0xb5ac
	v_add_f16_e32 v37, v28, v21
	v_add_f16_sdwa v36, v28, v21 dst_sel:DWORD dst_unused:UNUSED_PAD src0_sel:WORD_1 src1_sel:WORD_1
	v_sub_f16_e32 v38, v21, v28
	v_sub_f16_sdwa v28, v21, v28 dst_sel:DWORD dst_unused:UNUSED_PAD src0_sel:WORD_1 src1_sel:WORD_1
	v_add_f16_e32 v55, v19, v16
	v_add_f16_sdwa v39, v19, v16 dst_sel:DWORD dst_unused:UNUSED_PAD src0_sel:WORD_1 src1_sel:WORD_1
	v_sub_f16_e32 v56, v16, v19
	v_sub_f16_sdwa v57, v16, v19 dst_sel:DWORD dst_unused:UNUSED_PAD src0_sel:WORD_1 src1_sel:WORD_1
	v_mul_f16_e32 v16, 0xb94e, v15
	s_mov_b32 s15, 0xb9fd
	v_mul_f16_e32 v15, 0xb3a8, v15
	s_mov_b32 s14, 0xbbc4
	v_mul_f16_e32 v19, 0xbbf1, v65
	v_mul_f16_e32 v21, 0xbb7b, v65
	v_mul_f16_e32 v78, 0xb94e, v65
	v_mul_f16_e32 v65, 0xb3a8, v65
	v_fma_f16 v71, v64, s6, v34
	v_fma_f16 v73, v64, s6, -v34
	v_fma_f16 v76, v63, s7, -v33
	v_fma_f16 v77, v63, s7, v33
	v_add_f16_e32 v34, v29, v20
	v_add_f16_sdwa v33, v29, v20 dst_sel:DWORD dst_unused:UNUSED_PAD src0_sel:WORD_1 src1_sel:WORD_1
	v_sub_f16_e32 v35, v20, v29
	v_sub_f16_sdwa v29, v20, v29 dst_sel:DWORD dst_unused:UNUSED_PAD src0_sel:WORD_1 src1_sel:WORD_1
	v_add_f16_e32 v59, v18, v17
	v_add_f16_sdwa v58, v18, v17 dst_sel:DWORD dst_unused:UNUSED_PAD src0_sel:WORD_1 src1_sel:WORD_1
	v_sub_f16_e32 v60, v17, v18
	v_sub_f16_sdwa v61, v17, v18 dst_sel:DWORD dst_unused:UNUSED_PAD src0_sel:WORD_1 src1_sel:WORD_1
	v_fma_f16 v17, v63, s15, -v16
	v_fma_f16 v16, v63, s15, v16
	v_fma_f16 v18, v63, s14, -v15
	v_fma_f16 v15, v63, s14, v15
	v_fma_f16 v20, v64, s4, v19
	v_fma_f16 v19, v64, s4, -v19
	v_fma_f16 v63, v64, s7, v21
	v_fma_f16 v21, v64, s7, -v21
	;; [unrolled: 2-line block ×4, first 2 shown]
	v_add_f16_sdwa v97, v14, v67 dst_sel:DWORD dst_unused:UNUSED_PAD src0_sel:WORD_1 src1_sel:DWORD
	v_add_f16_sdwa v67, v14, v64 dst_sel:DWORD dst_unused:UNUSED_PAD src0_sel:WORD_1 src1_sel:DWORD
	s_mov_b32 s17, 0xba95
	v_pk_add_f16 v64, v1, v31 neg_lo:[0,1] neg_hi:[0,1]
	v_add_f16_sdwa v89, v14, v69 dst_sel:DWORD dst_unused:UNUSED_PAD src0_sel:WORD_1 src1_sel:DWORD
	v_add_f16_sdwa v85, v14, v73 dst_sel:DWORD dst_unused:UNUSED_PAD src0_sel:WORD_1 src1_sel:DWORD
	;; [unrolled: 1-line block ×3, first 2 shown]
	v_add_f16_e32 v73, v14, v16
	v_add_f16_sdwa v69, v14, v93 dst_sel:DWORD dst_unused:UNUSED_PAD src0_sel:WORD_1 src1_sel:DWORD
	s_mov_b32 s16, 0xbb7b
	v_pk_add_f16 v63, v31, v1
	v_mul_f16_sdwa v16, v64, s17 dst_sel:DWORD dst_unused:UNUSED_PAD src0_sel:WORD_1 src1_sel:DWORD
	v_pk_add_f16 v93, v24, v27 neg_lo:[0,1] neg_hi:[0,1]
	v_add_f16_e32 v98, v14, v66
	v_add_f16_e32 v91, v14, v68
	;; [unrolled: 1-line block ×3, first 2 shown]
	v_add_f16_sdwa v87, v14, v71 dst_sel:DWORD dst_unused:UNUSED_PAD src0_sel:WORD_1 src1_sel:DWORD
	v_add_f16_e32 v86, v14, v72
	v_add_f16_e32 v84, v14, v74
	v_add_f16_sdwa v83, v14, v20 dst_sel:DWORD dst_unused:UNUSED_PAD src0_sel:WORD_1 src1_sel:DWORD
	v_add_f16_e32 v82, v14, v75
	v_add_f16_sdwa v81, v14, v19 dst_sel:DWORD dst_unused:UNUSED_PAD src0_sel:WORD_1 src1_sel:DWORD
	v_add_f16_e32 v80, v14, v76
	v_add_f16_e32 v78, v14, v77
	v_add_f16_sdwa v76, v14, v21 dst_sel:DWORD dst_unused:UNUSED_PAD src0_sel:WORD_1 src1_sel:DWORD
	v_add_f16_e32 v75, v14, v17
	v_add_f16_sdwa v74, v14, v90 dst_sel:DWORD dst_unused:UNUSED_PAD src0_sel:WORD_1 src1_sel:DWORD
	v_add_f16_sdwa v72, v14, v92 dst_sel:DWORD dst_unused:UNUSED_PAD src0_sel:WORD_1 src1_sel:DWORD
	v_add_f16_e32 v71, v14, v18
	v_add_f16_e32 v68, v14, v15
	v_fma_f16 v14, v63, s6, -v16
	v_pk_add_f16 v65, v27, v24
	v_mul_f16_sdwa v17, v93, s16 dst_sel:DWORD dst_unused:UNUSED_PAD src0_sel:WORD_1 src1_sel:DWORD
	s_mov_b32 s19, 0xbbf1
	v_add_f16_e32 v14, v14, v0
	v_fma_f16 v15, v65, s7, -v17
	s_mov_b32 s18, 0xb3a8
	v_mul_f16_sdwa v18, v64, s19 dst_sel:DWORD dst_unused:UNUSED_PAD src0_sel:WORD_1 src1_sel:DWORD
	v_add_f16_e32 v14, v15, v14
	v_fma_f16 v15, v63, s4, -v18
	v_mul_f16_sdwa v19, v93, s18 dst_sel:DWORD dst_unused:UNUSED_PAD src0_sel:WORD_1 src1_sel:DWORD
	v_add_f16_e32 v15, v15, v0
	v_fma_f16 v20, v65, s14, -v19
	v_pk_add_f16 v96, v25, v26 neg_lo:[0,1] neg_hi:[0,1]
	v_add_f16_e32 v15, v20, v15
	v_pk_add_f16 v66, v26, v25
	v_mul_f16_sdwa v20, v96, s18 dst_sel:DWORD dst_unused:UNUSED_PAD src0_sel:WORD_1 src1_sel:DWORD
	v_fma_f16 v21, v66, s14, -v20
	s_movk_i32 s20, 0x3b7b
	v_add_f16_e32 v14, v21, v14
	v_mul_f16_sdwa v21, v96, s20 dst_sel:DWORD dst_unused:UNUSED_PAD src0_sel:WORD_1 src1_sel:DWORD
	v_fma_f16 v70, v66, s7, -v21
	s_movk_i32 s21, 0x394e
	v_pk_add_f16 v95, v4, v7 neg_lo:[0,1] neg_hi:[0,1]
	v_fma_f16 v16, v63, s6, v16
	v_add_f16_e32 v15, v70, v15
	v_pk_add_f16 v70, v7, v4
	v_mul_f16_sdwa v99, v95, s21 dst_sel:DWORD dst_unused:UNUSED_PAD src0_sel:WORD_1 src1_sel:DWORD
	s_movk_i32 s22, 0x3770
	v_fma_f16 v17, v65, s7, v17
	v_add_f16_e32 v16, v16, v0
	v_fma_f16 v77, v70, s15, -v99
	v_mul_f16_sdwa v100, v95, s22 dst_sel:DWORD dst_unused:UNUSED_PAD src0_sel:WORD_1 src1_sel:DWORD
	s_movk_i32 s23, 0x3bf1
	v_pk_add_f16 v94, v5, v6 neg_lo:[0,1] neg_hi:[0,1]
	v_add_f16_e32 v16, v17, v16
	v_fma_f16 v17, v63, s4, v18
	v_add_f16_e32 v14, v77, v14
	v_fma_f16 v77, v70, s5, -v100
	v_pk_add_f16 v92, v6, v5
	v_mul_f16_sdwa v101, v94, s23 dst_sel:DWORD dst_unused:UNUSED_PAD src0_sel:WORD_1 src1_sel:DWORD
	v_fma_f16 v18, v65, s14, v19
	v_add_f16_e32 v17, v17, v0
	v_add_f16_e32 v15, v77, v15
	v_fma_f16 v77, v92, s4, -v101
	v_mul_f16_sdwa v102, v94, s17 dst_sel:DWORD dst_unused:UNUSED_PAD src0_sel:WORD_1 src1_sel:DWORD
	v_add_f16_e32 v17, v18, v17
	v_fma_f16 v18, v66, s14, v20
	v_add_f16_e32 v14, v77, v14
	v_fma_f16 v77, v92, s6, -v102
	v_add_f16_e32 v16, v18, v16
	v_fma_f16 v18, v66, s7, v21
	v_add_f16_e32 v15, v77, v15
	v_pk_add_f16 v77, v2, v3 neg_lo:[0,1] neg_hi:[0,1]
	v_add_f16_e32 v17, v18, v17
	v_fma_f16 v18, v70, s15, v99
	v_pk_add_f16 v90, v3, v2
	v_mul_f16_sdwa v103, v77, s22 dst_sel:DWORD dst_unused:UNUSED_PAD src0_sel:WORD_1 src1_sel:DWORD
	v_add_f16_e32 v16, v18, v16
	v_fma_f16 v18, v70, s5, v100
	s_mov_b32 s20, 0xb94e
	v_fma_f16 v104, v90, s5, -v103
	v_add_f16_e32 v17, v18, v17
	v_fma_f16 v18, v92, s4, v101
	v_add_f16_e32 v14, v104, v14
	v_mul_f16_sdwa v104, v77, s20 dst_sel:DWORD dst_unused:UNUSED_PAD src0_sel:WORD_1 src1_sel:DWORD
	v_add_f16_e32 v16, v18, v16
	v_fma_f16 v18, v92, s6, v102
	v_add_f16_e32 v18, v18, v17
	v_fma_f16 v17, v90, s5, v103
	v_fma_f16 v19, v90, s15, v104
	v_mul_f16_sdwa v20, v64, s16 dst_sel:DWORD dst_unused:UNUSED_PAD src0_sel:WORD_1 src1_sel:DWORD
	v_add_f16_e32 v17, v17, v16
	v_add_f16_e32 v16, v19, v18
	v_fma_f16 v18, v63, s7, -v20
	v_mul_f16_sdwa v21, v93, s21 dst_sel:DWORD dst_unused:UNUSED_PAD src0_sel:WORD_1 src1_sel:DWORD
	v_add_f16_e32 v18, v18, v0
	v_fma_f16 v19, v65, s15, -v21
	v_mul_f16_sdwa v99, v64, s20 dst_sel:DWORD dst_unused:UNUSED_PAD src0_sel:WORD_1 src1_sel:DWORD
	;; [unrolled: 3-line block ×3, first 2 shown]
	v_add_f16_e32 v19, v19, v0
	v_fma_f16 v101, v65, s4, -v100
	v_add_f16_e32 v19, v101, v19
	v_mul_f16_sdwa v101, v96, s22 dst_sel:DWORD dst_unused:UNUSED_PAD src0_sel:WORD_1 src1_sel:DWORD
	v_fma_f16 v102, v66, s5, -v101
	v_add_f16_e32 v18, v102, v18
	v_mul_f16_sdwa v102, v96, s17 dst_sel:DWORD dst_unused:UNUSED_PAD src0_sel:WORD_1 src1_sel:DWORD
	;; [unrolled: 3-line block ×3, first 2 shown]
	v_fma_f16 v105, v90, s15, -v104
	v_fma_f16 v104, v70, s4, -v103
	s_movk_i32 s21, 0x33a8
	v_fma_f16 v20, v63, s7, v20
	v_add_f16_e32 v18, v104, v18
	v_mul_f16_sdwa v104, v95, s21 dst_sel:DWORD dst_unused:UNUSED_PAD src0_sel:WORD_1 src1_sel:DWORD
	v_fma_f16 v21, v65, s15, v21
	v_add_f16_e32 v20, v20, v0
	v_add_f16_e32 v15, v105, v15
	v_fma_f16 v105, v70, s14, -v104
	v_add_f16_e32 v20, v21, v20
	v_fma_f16 v21, v63, s15, v99
	v_add_f16_e32 v19, v105, v19
	v_mul_f16_sdwa v105, v94, s21 dst_sel:DWORD dst_unused:UNUSED_PAD src0_sel:WORD_1 src1_sel:DWORD
	v_fma_f16 v99, v65, s4, v100
	v_add_f16_e32 v21, v21, v0
	v_fma_f16 v106, v92, s14, -v105
	v_add_f16_e32 v21, v99, v21
	v_fma_f16 v99, v66, s5, v101
	v_add_f16_e32 v18, v106, v18
	v_mul_f16_sdwa v106, v94, s22 dst_sel:DWORD dst_unused:UNUSED_PAD src0_sel:WORD_1 src1_sel:DWORD
	v_add_f16_e32 v20, v99, v20
	v_fma_f16 v99, v66, s6, v102
	v_fma_f16 v107, v92, s5, -v106
	s_movk_i32 s21, 0x3a95
	v_add_f16_e32 v21, v99, v21
	v_fma_f16 v99, v70, s4, v103
	v_add_f16_e32 v19, v107, v19
	v_mul_f16_sdwa v107, v77, s21 dst_sel:DWORD dst_unused:UNUSED_PAD src0_sel:WORD_1 src1_sel:DWORD
	v_add_f16_e32 v20, v99, v20
	v_fma_f16 v99, v70, s14, v104
	v_fma_f16 v108, v90, s6, -v107
	v_add_f16_e32 v21, v99, v21
	v_fma_f16 v99, v92, s14, v105
	v_add_f16_e32 v18, v108, v18
	v_mul_f16_sdwa v108, v77, s16 dst_sel:DWORD dst_unused:UNUSED_PAD src0_sel:WORD_1 src1_sel:DWORD
	v_add_f16_e32 v20, v99, v20
	v_fma_f16 v99, v92, s5, v106
	v_add_f16_e32 v99, v99, v21
	v_fma_f16 v21, v90, s6, v107
	v_fma_f16 v100, v90, s7, v108
	v_add_f16_e32 v54, v54, v32
	v_add_f16_sdwa v32, v62, v32 dst_sel:DWORD dst_unused:UNUSED_PAD src0_sel:DWORD src1_sel:WORD_1
	v_mul_f16_e32 v62, 0xba95, v29
	v_add_f16_e32 v21, v21, v20
	v_add_f16_e32 v20, v100, v99
	v_fma_f16 v99, v34, s6, -v62
	v_add_f16_e32 v98, v99, v98
	v_mul_f16_e32 v99, 0xba95, v35
	v_fma_f16 v100, v33, s6, v99
	v_add_f16_e32 v97, v100, v97
	v_mul_f16_e32 v100, 0xbbf1, v28
	v_fma_f16 v101, v37, s4, -v100
	v_add_f16_e32 v98, v101, v98
	v_mul_f16_e32 v101, 0xbbf1, v38
	v_fma_f16 v102, v36, s4, v101
	v_add_f16_e32 v97, v102, v97
	v_mul_f16_e32 v102, 0xbb7b, v57
	;; [unrolled: 6-line block ×3, first 2 shown]
	v_fma_f16 v105, v59, s15, -v104
	v_add_f16_e32 v98, v105, v98
	v_mul_f16_e32 v105, 0xb94e, v60
	v_fma_f16 v106, v58, s15, v105
	v_fma_f16 v109, v90, s7, -v108
	v_add_f16_e32 v97, v106, v97
	v_add_f16_e32 v106, v23, v22
	v_add_f16_sdwa v107, v23, v22 dst_sel:DWORD dst_unused:UNUSED_PAD src0_sel:WORD_1 src1_sel:WORD_1
	v_sub_f16_e32 v108, v22, v23
	v_sub_f16_sdwa v22, v22, v23 dst_sel:DWORD dst_unused:UNUSED_PAD src0_sel:WORD_1 src1_sel:WORD_1
	v_mul_f16_e32 v23, 0xb3a8, v22
	v_add_f16_e32 v19, v109, v19
	v_fma_f16 v109, v106, s14, -v23
	v_add_f16_e32 v98, v109, v98
	v_mul_f16_e32 v109, 0xb3a8, v108
	v_fma_f16 v110, v107, s14, v109
	v_add_f16_e32 v97, v110, v97
	v_pack_b32_f16 v32, v54, v32
	v_mul_lo_u16_e32 v54, 13, v8
	v_pack_b32_f16 v97, v98, v97
	v_lshl_add_u32 v54, v54, 2, v9
	s_waitcnt lgkmcnt(0)
	; wave barrier
	ds_write2_b32 v54, v32, v97 offset1:1
	v_fma_f16 v32, v34, s6, v62
	v_fma_f16 v62, v33, s6, -v99
	v_add_f16_e32 v62, v62, v89
	v_mul_f16_e32 v89, 0xbb7b, v29
	v_add_f16_e32 v32, v32, v91
	v_fma_f16 v91, v34, s7, -v89
	v_add_f16_e32 v88, v91, v88
	v_mul_f16_e32 v91, 0xbb7b, v35
	v_fma_f16 v89, v34, s7, v89
	v_add_f16_e32 v86, v89, v86
	v_fma_f16 v89, v33, s7, -v91
	v_add_f16_e32 v85, v89, v85
	v_mul_f16_e32 v89, 0xb3a8, v29
	v_fma_f16 v97, v33, s7, v91
	v_fma_f16 v91, v34, s14, -v89
	v_add_f16_e32 v84, v91, v84
	v_mul_f16_e32 v91, 0xb3a8, v35
	v_fma_f16 v89, v34, s14, v89
	v_add_f16_e32 v82, v89, v82
	v_fma_f16 v89, v33, s14, -v91
	v_add_f16_e32 v81, v89, v81
	v_mul_f16_e32 v89, 0x394e, v29
	v_add_f16_e32 v87, v97, v87
	v_fma_f16 v97, v33, s14, v91
	v_fma_f16 v91, v34, s15, -v89
	v_add_f16_e32 v80, v91, v80
	v_mul_f16_e32 v91, 0x394e, v35
	v_fma_f16 v89, v34, s15, v89
	v_add_f16_e32 v78, v89, v78
	v_fma_f16 v89, v33, s15, -v91
	v_add_f16_e32 v76, v89, v76
	v_mul_f16_e32 v89, 0x3bf1, v29
	v_add_f16_e32 v83, v97, v83
	v_fma_f16 v97, v33, s15, v91
	v_fma_f16 v91, v34, s4, -v89
	v_add_f16_e32 v75, v91, v75
	v_mul_f16_e32 v91, 0x3bf1, v35
	v_fma_f16 v89, v34, s4, v89
	v_add_f16_e32 v73, v89, v73
	v_fma_f16 v89, v33, s4, -v91
	v_mul_f16_e32 v29, 0x3770, v29
	v_add_f16_e32 v72, v89, v72
	v_fma_f16 v89, v34, s5, -v29
	v_mul_f16_e32 v35, 0x3770, v35
	v_add_f16_e32 v79, v97, v79
	v_fma_f16 v97, v33, s4, v91
	v_add_f16_e32 v71, v89, v71
	v_fma_f16 v89, v33, s5, v35
	v_fma_f16 v33, v33, s5, -v35
	v_fma_f16 v29, v34, s5, v29
	v_add_f16_e32 v33, v33, v67
	v_fma_f16 v34, v37, s4, v100
	v_mul_f16_e32 v67, 0xb3a8, v38
	v_add_f16_e32 v29, v29, v68
	v_add_f16_e32 v32, v34, v32
	v_fma_f16 v34, v36, s4, -v101
	v_mul_f16_e32 v35, 0xb3a8, v28
	v_fma_f16 v68, v36, s14, v67
	v_fma_f16 v67, v36, s14, -v67
	v_add_f16_e32 v34, v34, v62
	v_fma_f16 v62, v37, s14, -v35
	v_fma_f16 v35, v37, s14, v35
	v_add_f16_e32 v67, v67, v85
	v_mul_f16_e32 v85, 0x3b7b, v28
	v_add_f16_e32 v35, v35, v86
	v_fma_f16 v86, v37, s7, -v85
	v_add_f16_e32 v84, v86, v84
	v_mul_f16_e32 v86, 0x3b7b, v38
	v_fma_f16 v85, v37, s7, v85
	v_add_f16_e32 v82, v85, v82
	v_fma_f16 v85, v36, s7, -v86
	v_add_f16_e32 v81, v85, v81
	v_mul_f16_e32 v85, 0x3770, v28
	v_add_f16_e32 v68, v68, v87
	v_fma_f16 v87, v36, s7, v86
	v_fma_f16 v86, v37, s5, -v85
	v_add_f16_e32 v80, v86, v80
	v_mul_f16_e32 v86, 0x3770, v38
	v_fma_f16 v85, v37, s5, v85
	v_add_f16_e32 v78, v85, v78
	v_fma_f16 v85, v36, s5, -v86
	v_add_f16_e32 v76, v85, v76
	v_mul_f16_e32 v85, 0xba95, v28
	v_add_f16_e32 v83, v87, v83
	v_fma_f16 v87, v36, s5, v86
	v_fma_f16 v86, v37, s6, -v85
	v_add_f16_e32 v75, v86, v75
	v_mul_f16_e32 v86, 0xba95, v38
	v_fma_f16 v85, v37, s6, v85
	v_add_f16_e32 v73, v85, v73
	v_fma_f16 v85, v36, s6, -v86
	v_mul_f16_e32 v28, 0xb94e, v28
	v_add_f16_e32 v72, v85, v72
	v_fma_f16 v85, v37, s15, -v28
	v_mul_f16_e32 v38, 0xb94e, v38
	v_fma_f16 v28, v37, s15, v28
	v_add_f16_e32 v28, v28, v29
	v_fma_f16 v29, v36, s15, -v38
	v_add_f16_e32 v29, v29, v33
	v_fma_f16 v33, v55, s7, v102
	v_add_f16_e32 v32, v33, v32
	v_fma_f16 v33, v39, s7, -v103
	v_add_f16_e32 v33, v33, v34
	v_mul_f16_e32 v34, 0x394e, v57
	v_add_f16_e32 v79, v87, v79
	v_fma_f16 v87, v36, s6, v86
	v_add_f16_e32 v71, v85, v71
	v_fma_f16 v85, v36, s15, v38
	v_fma_f16 v36, v55, s15, -v34
	v_mul_f16_e32 v37, 0x394e, v56
	v_fma_f16 v34, v55, s15, v34
	v_add_f16_e32 v34, v34, v35
	v_fma_f16 v35, v39, s15, -v37
	v_fma_f16 v38, v39, s15, v37
	v_add_f16_e32 v35, v35, v67
	v_mul_f16_e32 v67, 0x3770, v56
	v_add_f16_e32 v62, v62, v88
	v_add_f16_e32 v38, v38, v68
	v_mul_f16_e32 v37, 0x3770, v57
	v_fma_f16 v68, v39, s5, v67
	v_fma_f16 v67, v39, s5, -v67
	v_add_f16_e32 v36, v36, v62
	v_fma_f16 v62, v55, s5, -v37
	v_fma_f16 v37, v55, s5, v37
	v_add_f16_e32 v67, v67, v81
	v_mul_f16_e32 v81, 0xbbf1, v57
	v_add_f16_e32 v37, v37, v82
	v_fma_f16 v82, v55, s4, -v81
	v_add_f16_e32 v80, v82, v80
	v_mul_f16_e32 v82, 0xbbf1, v56
	v_fma_f16 v81, v55, s4, v81
	v_add_f16_e32 v78, v81, v78
	v_fma_f16 v81, v39, s4, -v82
	v_add_f16_e32 v76, v81, v76
	v_mul_f16_e32 v81, 0x33a8, v57
	v_add_f16_e32 v68, v68, v83
	v_fma_f16 v83, v39, s4, v82
	v_fma_f16 v82, v55, s14, -v81
	v_add_f16_e32 v75, v82, v75
	v_mul_f16_e32 v82, 0x33a8, v56
	v_fma_f16 v81, v55, s14, v81
	v_add_f16_e32 v73, v81, v73
	v_fma_f16 v81, v39, s14, -v82
	v_mul_f16_e32 v57, 0x3a95, v57
	v_add_f16_e32 v72, v81, v72
	v_fma_f16 v81, v55, s6, -v57
	v_mul_f16_e32 v56, 0x3a95, v56
	v_add_f16_e32 v79, v83, v79
	v_fma_f16 v83, v39, s14, v82
	v_add_f16_e32 v71, v81, v71
	v_fma_f16 v81, v39, s6, v56
	v_fma_f16 v39, v39, s6, -v56
	v_add_f16_e32 v29, v39, v29
	v_fma_f16 v39, v59, s15, v104
	v_add_f16_e32 v32, v39, v32
	v_fma_f16 v39, v58, s15, -v105
	v_fma_f16 v55, v55, s6, v57
	v_add_f16_e32 v33, v39, v33
	v_mul_f16_e32 v39, 0x3bf1, v61
	v_add_f16_e32 v28, v55, v28
	v_fma_f16 v55, v59, s4, -v39
	v_add_f16_e32 v36, v55, v36
	v_mul_f16_e32 v55, 0x3bf1, v60
	v_fma_f16 v39, v59, s4, v39
	v_add_f16_e32 v34, v39, v34
	v_fma_f16 v39, v58, s4, -v55
	v_fma_f16 v56, v58, s4, v55
	v_add_f16_e32 v35, v39, v35
	v_mul_f16_e32 v39, 0xba95, v61
	v_add_f16_e32 v38, v56, v38
	v_fma_f16 v55, v59, s6, -v39
	v_mul_f16_e32 v56, 0xba95, v60
	v_fma_f16 v39, v59, s6, v39
	v_add_f16_e32 v37, v39, v37
	v_fma_f16 v39, v58, s6, -v56
	v_fma_f16 v57, v58, s6, v56
	v_add_f16_e32 v39, v39, v67
	v_mul_f16_e32 v67, 0x33a8, v60
	v_add_f16_e32 v62, v62, v84
	v_add_f16_e32 v57, v57, v68
	v_mul_f16_e32 v56, 0x33a8, v61
	v_fma_f16 v68, v58, s14, v67
	v_fma_f16 v67, v58, s14, -v67
	v_add_f16_e32 v55, v55, v62
	v_fma_f16 v62, v59, s14, -v56
	v_fma_f16 v56, v59, s14, v56
	v_add_f16_e32 v67, v67, v76
	v_mul_f16_e32 v76, 0x3770, v61
	v_add_f16_e32 v56, v56, v78
	v_fma_f16 v78, v59, s5, -v76
	v_add_f16_e32 v75, v78, v75
	v_mul_f16_e32 v78, 0x3770, v60
	v_fma_f16 v76, v59, s5, v76
	v_add_f16_e32 v73, v76, v73
	v_fma_f16 v76, v58, s5, -v78
	v_mul_f16_e32 v61, 0xbb7b, v61
	v_fma_f16 v23, v106, s14, v23
	v_add_f16_e32 v72, v76, v72
	v_fma_f16 v76, v59, s7, -v61
	v_mul_f16_e32 v60, 0xbb7b, v60
	v_add_f16_e32 v32, v23, v32
	v_fma_f16 v23, v107, s14, -v109
	v_add_f16_e32 v68, v68, v79
	v_fma_f16 v79, v58, s5, v78
	v_add_f16_e32 v71, v76, v71
	v_fma_f16 v76, v58, s7, v60
	v_fma_f16 v58, v58, s7, -v60
	v_add_f16_e32 v33, v23, v33
	v_mul_f16_e32 v23, 0x3770, v22
	v_add_f16_e32 v29, v58, v29
	v_fma_f16 v58, v106, s5, -v23
	v_add_f16_e32 v36, v58, v36
	v_mul_f16_e32 v58, 0x3770, v108
	v_fma_f16 v23, v106, s5, v23
	v_add_f16_e32 v34, v23, v34
	v_fma_f16 v23, v107, s5, -v58
	v_fma_f16 v59, v59, s7, v61
	v_add_f16_e32 v35, v23, v35
	v_mul_f16_e32 v23, 0xb94e, v22
	v_add_f16_e32 v28, v59, v28
	v_fma_f16 v59, v107, s5, v58
	v_fma_f16 v58, v106, s15, -v23
	v_add_f16_e32 v55, v58, v55
	v_mul_f16_e32 v58, 0xb94e, v108
	v_fma_f16 v23, v106, s15, v23
	v_add_f16_e32 v37, v23, v37
	v_fma_f16 v23, v107, s15, -v58
	v_add_f16_e32 v38, v59, v38
	v_fma_f16 v59, v107, s15, v58
	v_add_f16_e32 v39, v23, v39
	v_mul_f16_e32 v23, 0x3a95, v22
	v_add_f16_e32 v57, v59, v57
	v_fma_f16 v58, v106, s6, -v23
	v_mul_f16_e32 v59, 0x3a95, v108
	v_fma_f16 v23, v106, s6, v23
	v_add_f16_e32 v56, v23, v56
	v_fma_f16 v23, v107, s6, -v59
	v_add_f16_e32 v62, v62, v80
	v_fma_f16 v60, v107, s6, v59
	v_add_f16_e32 v59, v23, v67
	v_mul_f16_e32 v23, 0xbb7b, v22
	v_add_f16_e32 v74, v97, v74
	v_add_f16_e32 v58, v58, v62
	v_fma_f16 v61, v106, s7, -v23
	v_mul_f16_e32 v62, 0xbb7b, v108
	v_fma_f16 v23, v106, s7, v23
	v_add_f16_e32 v69, v89, v69
	v_add_f16_e32 v74, v87, v74
	v_add_f16_e32 v80, v23, v73
	v_fma_f16 v23, v107, s7, -v62
	v_mul_f16_e32 v22, 0x3bf1, v22
	v_add_f16_e32 v69, v85, v69
	v_add_f16_e32 v74, v83, v74
	v_fma_f16 v67, v107, s7, v62
	v_add_f16_e32 v62, v23, v72
	v_fma_f16 v23, v106, s4, -v22
	v_add_f16_e32 v69, v81, v69
	v_add_f16_e32 v74, v79, v74
	;; [unrolled: 1-line block ×3, first 2 shown]
	v_mul_f16_e32 v23, 0x3bf1, v108
	v_add_f16_e32 v79, v67, v74
	v_fma_f16 v67, v107, s4, v23
	v_fma_f16 v22, v106, s4, v22
	v_fma_f16 v23, v107, s4, -v23
	v_add_f16_e32 v69, v76, v69
	v_add_f16_e32 v22, v22, v28
	;; [unrolled: 1-line block ×3, first 2 shown]
	v_pack_b32_f16 v23, v55, v57
	v_pack_b32_f16 v28, v36, v38
	v_add_f16_e32 v82, v67, v69
	v_lshrrev_b32_e32 v29, 16, v63
	ds_write2_b32 v54, v28, v23 offset0:2 offset1:3
	v_mul_f16_e32 v23, 0xba95, v64
	v_mul_f16_e32 v36, 0xbbf1, v64
	;; [unrolled: 1-line block ×5, first 2 shown]
	s_mov_b32 s21, 0xb770
	v_add_f16_e32 v60, v60, v68
	v_fma_f16 v28, v29, s6, v23
	v_fma_f16 v23, v29, s6, -v23
	v_fma_f16 v38, v29, s4, v36
	v_fma_f16 v36, v29, s4, -v36
	;; [unrolled: 2-line block ×5, first 2 shown]
	v_mul_f16_sdwa v69, v64, s21 dst_sel:DWORD dst_unused:UNUSED_PAD src0_sel:WORD_1 src1_sel:DWORD
	s_mov_b32 s22, 0xb3a8b770
	v_fma_f16 v71, v63, s5, -v69
	s_mov_b32 s21, 0x3b15bbc4
	v_pk_mul_f16 v64, v64, s22
	v_fma_f16 v69, v63, s5, v69
	v_pk_fma_f16 v84, v63, s21, v64 op_sel:[0,0,1] op_sel_hi:[1,1,0]
	v_pk_fma_f16 v63, v63, s21, v64 op_sel:[0,0,1] op_sel_hi:[1,1,0] neg_lo:[0,0,1] neg_hi:[0,0,1]
	v_add_f16_e32 v64, v71, v0
	v_mul_f16_sdwa v71, v93, s17 dst_sel:DWORD dst_unused:UNUSED_PAD src0_sel:WORD_1 src1_sel:DWORD
	v_fma_f16 v72, v65, s6, -v71
	v_fma_f16 v71, v65, s6, v71
	v_add_f16_e32 v69, v69, v0
	v_add_f16_e32 v69, v71, v69
	v_lshrrev_b32_e32 v85, 16, v65
	v_mul_f16_e32 v71, 0xbb7b, v93
	v_add_f16_e32 v64, v72, v64
	v_fma_f16 v72, v85, s7, v71
	v_fma_f16 v71, v85, s7, -v71
	v_add_f16_sdwa v23, v23, v0 dst_sel:DWORD dst_unused:UNUSED_PAD src0_sel:DWORD src1_sel:WORD_1
	v_add_f16_sdwa v28, v28, v0 dst_sel:DWORD dst_unused:UNUSED_PAD src0_sel:DWORD src1_sel:WORD_1
	v_add_f16_e32 v23, v71, v23
	v_mul_f16_e32 v71, 0xb3a8, v93
	v_add_f16_e32 v28, v72, v28
	v_fma_f16 v72, v85, s14, v71
	v_fma_f16 v71, v85, s14, -v71
	v_add_f16_sdwa v36, v36, v0 dst_sel:DWORD dst_unused:UNUSED_PAD src0_sel:DWORD src1_sel:WORD_1
	v_add_f16_sdwa v38, v38, v0 dst_sel:DWORD dst_unused:UNUSED_PAD src0_sel:DWORD src1_sel:WORD_1
	v_add_f16_e32 v36, v71, v36
	v_mul_f16_e32 v71, 0x394e, v93
	v_add_f16_e32 v38, v72, v38
	v_fma_f16 v72, v85, s15, v71
	v_fma_f16 v71, v85, s15, -v71
	v_add_f16_sdwa v55, v55, v0 dst_sel:DWORD dst_unused:UNUSED_PAD src0_sel:DWORD src1_sel:WORD_1
	v_add_f16_sdwa v57, v57, v0 dst_sel:DWORD dst_unused:UNUSED_PAD src0_sel:DWORD src1_sel:WORD_1
	v_add_f16_e32 v55, v71, v55
	v_mul_f16_e32 v71, 0x3bf1, v93
	s_mov_b32 s21, 0x3770ba95
	v_add_f16_e32 v57, v72, v57
	v_fma_f16 v72, v85, s4, v71
	v_fma_f16 v71, v85, s4, -v71
	v_add_f16_sdwa v67, v67, v0 dst_sel:DWORD dst_unused:UNUSED_PAD src0_sel:DWORD src1_sel:WORD_1
	s_mov_b32 s17, 0x388b3b15
	v_pk_mul_f16 v86, v93, s21
	v_add_f16_e32 v67, v71, v67
	v_pk_add_f16 v63, v63, v0
	v_pk_fma_f16 v71, v65, s17, v86 op_sel:[0,0,1] op_sel_hi:[1,1,0] neg_lo:[0,0,1] neg_hi:[0,0,1]
	v_mul_f16_e32 v87, 0x3770, v93
	v_pk_add_f16 v63, v71, v63
	v_add_f16_sdwa v29, v29, v0 dst_sel:DWORD dst_unused:UNUSED_PAD src0_sel:DWORD src1_sel:WORD_1
	v_fma_f16 v71, v85, s5, -v87
	v_add_f16_sdwa v68, v68, v0 dst_sel:DWORD dst_unused:UNUSED_PAD src0_sel:DWORD src1_sel:WORD_1
	v_add_f16_e32 v29, v71, v29
	v_mul_f16_sdwa v71, v96, s19 dst_sel:DWORD dst_unused:UNUSED_PAD src0_sel:WORD_1 src1_sel:DWORD
	v_add_f16_e32 v68, v72, v68
	v_fma_f16 v72, v66, s4, -v71
	v_fma_f16 v71, v66, s4, v71
	v_add_f16_e32 v69, v71, v69
	v_lshrrev_b32_e32 v88, 16, v66
	v_mul_f16_e32 v71, 0xb3a8, v96
	v_add_f16_e32 v64, v72, v64
	v_fma_f16 v72, v88, s14, v71
	v_fma_f16 v71, v88, s14, -v71
	v_add_f16_e32 v23, v71, v23
	v_mul_f16_e32 v71, 0x3b7b, v96
	v_add_f16_e32 v28, v72, v28
	v_fma_f16 v72, v88, s7, v71
	v_fma_f16 v71, v88, s7, -v71
	v_add_f16_e32 v36, v71, v36
	;; [unrolled: 5-line block ×3, first 2 shown]
	v_mul_f16_e32 v71, 0xba95, v96
	s_mov_b32 s21, 0xb94ebbf1
	v_add_f16_e32 v57, v72, v57
	v_fma_f16 v72, v88, s6, v71
	v_fma_f16 v71, v88, s6, -v71
	s_mov_b32 s19, 0x2fb7b9fd
	v_pk_mul_f16 v89, v96, s21
	v_add_f16_e32 v67, v71, v67
	v_pk_fma_f16 v71, v66, s19, v89 op_sel:[0,0,1] op_sel_hi:[1,1,0] neg_lo:[0,0,1] neg_hi:[0,0,1]
	v_mul_f16_e32 v91, 0xb94e, v96
	v_pk_add_f16 v63, v71, v63
	v_fma_f16 v71, v88, s15, -v91
	v_add_f16_e32 v29, v71, v29
	v_mul_f16_sdwa v71, v95, s16 dst_sel:DWORD dst_unused:UNUSED_PAD src0_sel:WORD_1 src1_sel:DWORD
	v_add_f16_e32 v68, v72, v68
	v_fma_f16 v72, v70, s7, -v71
	v_fma_f16 v71, v70, s7, v71
	v_add_f16_e32 v69, v71, v69
	v_lshrrev_b32_e32 v93, 16, v70
	v_mul_f16_e32 v71, 0x394e, v95
	v_add_f16_e32 v64, v72, v64
	v_fma_f16 v72, v93, s15, v71
	v_fma_f16 v71, v93, s15, -v71
	v_add_f16_e32 v23, v71, v23
	v_mul_f16_e32 v71, 0x3770, v95
	v_add_f16_e32 v28, v72, v28
	v_fma_f16 v72, v93, s5, v71
	v_fma_f16 v71, v93, s5, -v71
	v_add_f16_e32 v36, v71, v36
	;; [unrolled: 5-line block ×3, first 2 shown]
	v_mul_f16_e32 v71, 0x33a8, v95
	s_mov_b32 s21, 0x3a95bb7b
	v_add_f16_e32 v57, v72, v57
	v_fma_f16 v72, v93, s14, v71
	v_fma_f16 v71, v93, s14, -v71
	s_mov_b32 s16, 0xb5ac388b
	v_pk_mul_f16 v96, v95, s21
	v_add_f16_e32 v67, v71, v67
	v_pk_fma_f16 v71, v70, s16, v96 op_sel:[0,0,1] op_sel_hi:[1,1,0] neg_lo:[0,0,1] neg_hi:[0,0,1]
	v_mul_f16_e32 v95, 0x3a95, v95
	v_pk_add_f16 v63, v71, v63
	v_fma_f16 v71, v93, s6, -v95
	v_add_f16_e32 v29, v71, v29
	v_mul_f16_sdwa v71, v94, s20 dst_sel:DWORD dst_unused:UNUSED_PAD src0_sel:WORD_1 src1_sel:DWORD
	v_add_f16_e32 v68, v72, v68
	v_fma_f16 v72, v92, s15, -v71
	v_fma_f16 v71, v92, s15, v71
	v_add_f16_e32 v69, v71, v69
	v_lshrrev_b32_e32 v97, 16, v92
	v_mul_f16_e32 v71, 0x3bf1, v94
	v_add_f16_e32 v64, v72, v64
	v_fma_f16 v72, v97, s4, v71
	v_fma_f16 v71, v97, s4, -v71
	v_add_f16_e32 v23, v71, v23
	v_mul_f16_e32 v71, 0xba95, v94
	v_add_f16_e32 v28, v72, v28
	v_fma_f16 v72, v97, s6, v71
	v_fma_f16 v71, v97, s6, -v71
	v_add_f16_e32 v36, v71, v36
	;; [unrolled: 5-line block ×3, first 2 shown]
	v_mul_f16_e32 v71, 0x3770, v94
	v_add_f16_e32 v57, v72, v57
	v_fma_f16 v72, v97, s5, v71
	s_mov_b32 s21, 0xbb7bb94e
	v_add_f16_e32 v74, v72, v68
	v_fma_f16 v68, v97, s5, -v71
	s_mov_b32 s20, 0xb9fdb5ac
	v_pk_mul_f16 v98, v94, s21
	v_add_f16_e32 v76, v68, v67
	v_pk_fma_f16 v67, v92, s20, v98 op_sel:[0,0,1] op_sel_hi:[1,1,0] neg_lo:[0,0,1] neg_hi:[0,0,1]
	v_mul_f16_e32 v94, 0xbb7b, v94
	v_pk_add_f16 v63, v67, v63
	v_fma_f16 v67, v97, s7, -v94
	v_pk_mul_f16 v65, v65, s17
	v_add_f16_e32 v29, v67, v29
	v_add_f16_sdwa v67, v86, v65 dst_sel:DWORD dst_unused:UNUSED_PAD src0_sel:DWORD src1_sel:WORD_1
	v_add_f16_sdwa v68, v84, v0 dst_sel:DWORD dst_unused:UNUSED_PAD src0_sel:WORD_1 src1_sel:WORD_1
	v_pk_mul_f16 v99, v66, s19
	v_add_f16_e32 v67, v67, v68
	v_add_f16_sdwa v66, v89, v99 dst_sel:DWORD dst_unused:UNUSED_PAD src0_sel:DWORD src1_sel:WORD_1
	v_pk_mul_f16 v100, v70, s16
	v_add_f16_e32 v66, v66, v67
	v_add_f16_sdwa v67, v96, v100 dst_sel:DWORD dst_unused:UNUSED_PAD src0_sel:DWORD src1_sel:WORD_1
	v_pk_mul_f16 v92, v92, s20
	s_mov_b32 s16, 0xbbc42fb7
	s_mov_b32 s17, 0x3bf1b3a8
	v_add_f16_e32 v66, v67, v66
	v_add_f16_sdwa v67, v98, v92 dst_sel:DWORD dst_unused:UNUSED_PAD src0_sel:DWORD src1_sel:WORD_1
	v_pk_mul_f16 v101, v90, s16
	v_pk_mul_f16 v102, v77, s17
	v_add_f16_e32 v66, v67, v66
	v_add_f16_sdwa v67, v102, v101 dst_sel:DWORD dst_unused:UNUSED_PAD src0_sel:DWORD src1_sel:WORD_1
	v_mul_f16_sdwa v103, v77, s18 dst_sel:DWORD dst_unused:UNUSED_PAD src0_sel:WORD_1 src1_sel:DWORD
	v_add_f16_e32 v66, v67, v66
	v_fma_f16 v67, v90, s14, v103
	v_lshrrev_b32_e32 v104, 16, v90
	v_mul_f16_e32 v68, 0x3770, v77
	v_add_f16_e32 v72, v67, v69
	v_fma_f16 v67, v104, s5, v68
	v_add_f16_e32 v67, v67, v28
	v_fma_f16 v28, v104, s5, -v68
	v_add_f16_e32 v71, v28, v23
	v_mul_f16_e32 v23, 0xb94e, v77
	v_fma_f16 v28, v104, s15, v23
	v_fma_f16 v23, v104, s15, -v23
	v_add_f16_e32 v73, v23, v36
	v_mul_f16_e32 v23, 0x3a95, v77
	v_add_f16_e32 v68, v28, v38
	v_fma_f16 v28, v104, s6, v23
	v_fma_f16 v23, v104, s6, -v23
	v_add_f16_e32 v61, v61, v75
	v_add_f16_e32 v75, v23, v55
	v_mul_f16_e32 v23, 0xbb7b, v77
	v_add_f16_e32 v69, v28, v57
	v_fma_f16 v28, v104, s7, v23
	v_add_f16_e32 v70, v28, v74
	v_fma_f16 v23, v104, s7, -v23
	v_pk_fma_f16 v28, v90, s16, v102 op_sel:[0,0,1] op_sel_hi:[1,1,0] neg_lo:[0,0,1] neg_hi:[0,0,1]
	v_mul_f16_e32 v36, 0x3b15, v85
	s_mov_b32 s6, 0x5040100
	v_add_f16_e32 v74, v23, v76
	v_pk_add_f16 v76, v28, v63
	v_pack_b32_f16 v28, v87, v84
	v_perm_b32 v36, v0, v36, s6
	s_mov_b32 s5, 0x7060302
	v_pk_add_f16 v28, v28, v36
	v_pack_b32_f16 v36, v78, v65
	v_perm_b32 v38, v86, v0, s5
	v_pk_add_f16 v36, v36, v38
	v_mul_f16_e32 v38, 0xb9fd, v88
	s_mov_b32 s7, 0xffff
	v_pk_add_f16 v28, v36, v28
	v_pack_b32_f16 v36, v91, v99
	v_bfi_b32 v38, s7, v38, v89
	v_pk_add_f16 v36, v36, v38
	v_mul_f16_e32 v38, 0x388b, v93
	v_pk_add_f16 v28, v36, v28
	v_pack_b32_f16 v36, v95, v100
	v_bfi_b32 v38, s7, v38, v96
	v_pk_add_f16 v36, v36, v38
	v_mul_f16_e32 v38, 0xb5ac, v97
	v_pk_add_f16 v28, v36, v28
	v_pack_b32_f16 v36, v94, v92
	v_bfi_b32 v38, s7, v38, v98
	v_pk_add_f16 v36, v36, v38
	v_mul_f16_e32 v38, 0x3bf1, v77
	v_pk_add_f16 v28, v36, v28
	v_mul_f16_e32 v36, 0x2fb7, v104
	v_bfi_b32 v36, s7, v36, v102
	v_pack_b32_f16 v55, v38, v101
	v_pk_add_f16 v36, v55, v36
	v_fma_f16 v23, v90, s14, -v103
	v_pk_add_f16 v77, v36, v28
	v_fma_f16 v28, v104, s4, -v38
	v_add_f16_e32 v78, v28, v29
	v_lshl_add_u64 v[28:29], s[12:13], 0, v[12:13]
	v_pack_b32_f16 v13, v22, v83
	v_pack_b32_f16 v22, v81, v82
	ds_write2_b32 v54, v22, v13 offset0:6 offset1:7
	v_pack_b32_f16 v13, v56, v59
	v_pack_b32_f16 v22, v80, v62
	ds_write2_b32 v54, v22, v13 offset0:8 offset1:9
	v_pack_b32_f16 v13, v34, v35
	v_pack_b32_f16 v22, v37, v39
	;; [unrolled: 1-line block ×4, first 2 shown]
	v_add_f16_e32 v23, v23, v64
	ds_write2_b32 v54, v22, v13 offset0:10 offset1:11
	v_pack_b32_f16 v13, v32, v33
	ds_write2_b32 v54, v38, v36 offset0:4 offset1:5
	ds_write_b32 v54, v13 offset:48
	s_and_saveexec_b64 s[4:5], vcc
	s_cbranch_execz .LBB0_7
; %bb.6:
	v_pk_add_f16 v0, v1, v0
	v_perm_b32 v1, v66, v23, s6
	v_pk_add_f16 v0, v24, v0
	s_nop 0
	v_pk_add_f16 v0, v25, v0
	s_nop 0
	;; [unrolled: 2-line block ×10, first 2 shown]
	v_pk_add_f16 v0, v31, v0
	ds_write2_b32 v9, v0, v1 offset0:169 offset1:170
	v_perm_b32 v0, v68, v15, s6
	v_perm_b32 v1, v67, v14, s6
	ds_write2_b32 v9, v1, v0 offset0:171 offset1:172
	v_perm_b32 v0, v70, v19, s6
	v_perm_b32 v1, v69, v18, s6
	ds_write2_b32 v9, v1, v0 offset0:173 offset1:174
	v_perm_b32 v0, v77, v76, s6
	v_alignbit_b32 v1, v78, v77, 16
	ds_write2_b32 v9, v0, v1 offset0:175 offset1:176
	v_perm_b32 v0, v75, v21, s6
	v_perm_b32 v1, v74, v20, s6
	ds_write2_b32 v9, v1, v0 offset0:177 offset1:178
	v_perm_b32 v0, v71, v17, s6
	v_perm_b32 v1, v73, v16, s6
	ds_write2_b32 v9, v1, v0 offset0:179 offset1:180
	v_bfi_b32 v0, s7, v72, v76
	ds_write_b32 v9, v0 offset:724
.LBB0_7:
	s_or_b64 exec, exec, s[4:5]
	v_add_u16_e32 v0, 26, v8
	s_movk_i32 s4, 0x4f
	v_mul_lo_u16_sdwa v1, v0, s4 dst_sel:DWORD dst_unused:UNUSED_PAD src0_sel:BYTE_0 src1_sel:DWORD
	v_lshrrev_b16_e32 v1, 10, v1
	v_mul_lo_u16_e32 v1, 13, v1
	v_sub_u16_e32 v0, v0, v1
	v_mov_b32_e32 v1, 2
	v_lshlrev_b32_sdwa v22, v1, v0 dst_sel:DWORD dst_unused:UNUSED_PAD src0_sel:DWORD src1_sel:BYTE_0
	v_add_u16_e32 v0, 39, v8
	v_mul_lo_u16_sdwa v2, v0, s4 dst_sel:DWORD dst_unused:UNUSED_PAD src0_sel:BYTE_0 src1_sel:DWORD
	v_lshrrev_b16_e32 v2, 10, v2
	v_mul_lo_u16_e32 v2, 13, v2
	v_sub_u16_e32 v0, v0, v2
	v_lshlrev_b32_sdwa v31, v1, v0 dst_sel:DWORD dst_unused:UNUSED_PAD src0_sel:DWORD src1_sel:BYTE_0
	v_add_u16_e32 v0, 52, v8
	v_mul_lo_u16_sdwa v2, v0, s4 dst_sel:DWORD dst_unused:UNUSED_PAD src0_sel:BYTE_0 src1_sel:DWORD
	v_lshrrev_b16_e32 v2, 10, v2
	v_mul_lo_u16_e32 v2, 13, v2
	v_sub_u16_e32 v0, v0, v2
	;; [unrolled: 6-line block ×3, first 2 shown]
	v_lshlrev_b32_e32 v13, 2, v8
	v_lshlrev_b32_sdwa v35, v1, v0 dst_sel:DWORD dst_unused:UNUSED_PAD src0_sel:DWORD src1_sel:BYTE_0
	v_add_u16_e32 v0, 0x4e, v8
	s_waitcnt lgkmcnt(0)
	; wave barrier
	s_waitcnt lgkmcnt(0)
	global_load_dword v55, v13, s[0:1]
	global_load_dword v60, v22, s[0:1]
	;; [unrolled: 1-line block ×5, first 2 shown]
	v_mul_lo_u16_sdwa v2, v0, s4 dst_sel:DWORD dst_unused:UNUSED_PAD src0_sel:BYTE_0 src1_sel:DWORD
	v_lshrrev_b16_e32 v2, 10, v2
	v_mul_lo_u16_e32 v2, 13, v2
	v_sub_u16_e32 v0, v0, v2
	v_lshlrev_b32_sdwa v36, v1, v0 dst_sel:DWORD dst_unused:UNUSED_PAD src0_sel:DWORD src1_sel:BYTE_0
	global_load_dword v56, v36, s[0:1]
	ds_read2_b32 v[0:1], v40 offset1:13
	ds_read2_b32 v[2:3], v40 offset0:78 offset1:91
	ds_read2_b32 v[4:5], v40 offset0:104 offset1:117
	ds_read2_b32 v[6:7], v40 offset0:26 offset1:39
	ds_read2_b32 v[24:25], v40 offset0:130 offset1:143
	ds_read2_b32 v[26:27], v40 offset0:52 offset1:65
	ds_read2_b32 v[32:33], v40 offset0:156 offset1:169
	s_waitcnt lgkmcnt(5)
	v_lshrrev_b32_e32 v38, 16, v3
	s_waitcnt lgkmcnt(4)
	v_lshrrev_b32_e32 v61, 16, v4
	v_lshrrev_b32_e32 v37, 16, v0
	v_lshrrev_b32_e32 v63, 16, v5
	v_lshrrev_b32_e32 v39, 16, v1
	s_waitcnt lgkmcnt(2)
	v_lshrrev_b32_e32 v65, 16, v24
	v_lshrrev_b32_e32 v62, 16, v6
	v_lshrrev_b32_e32 v80, 16, v25
	;; [unrolled: 5-line block ×3, first 2 shown]
	s_waitcnt lgkmcnt(0)
	; wave barrier
	v_lshrrev_b32_e32 v81, 16, v27
	v_lshrrev_b32_e32 v83, 16, v2
	s_mov_b32 s4, 0xbcab
	s_movk_i32 s5, 0x39e0
	s_mov_b32 s6, 0xb9e0
	s_movk_i32 s7, 0x3574
	;; [unrolled: 2-line block ×3, first 2 shown]
	s_waitcnt vmcnt(5)
	v_mul_f16_sdwa v85, v38, v55 dst_sel:DWORD dst_unused:UNUSED_PAD src0_sel:DWORD src1_sel:WORD_1
	v_mul_f16_sdwa v86, v3, v55 dst_sel:DWORD dst_unused:UNUSED_PAD src0_sel:DWORD src1_sel:WORD_1
	v_mul_f16_sdwa v87, v61, v55 dst_sel:DWORD dst_unused:UNUSED_PAD src0_sel:DWORD src1_sel:WORD_1
	v_mul_f16_sdwa v88, v4, v55 dst_sel:DWORD dst_unused:UNUSED_PAD src0_sel:DWORD src1_sel:WORD_1
	v_fma_f16 v3, v3, v55, -v85
	v_fma_f16 v38, v38, v55, v86
	v_fma_f16 v4, v4, v55, -v87
	v_fma_f16 v61, v61, v55, v88
	s_waitcnt vmcnt(4)
	v_mul_f16_sdwa v85, v63, v60 dst_sel:DWORD dst_unused:UNUSED_PAD src0_sel:DWORD src1_sel:WORD_1
	v_mul_f16_sdwa v86, v5, v60 dst_sel:DWORD dst_unused:UNUSED_PAD src0_sel:DWORD src1_sel:WORD_1
	v_sub_f16_e32 v3, v0, v3
	v_sub_f16_e32 v38, v37, v38
	s_waitcnt vmcnt(3)
	v_mul_f16_sdwa v87, v65, v59 dst_sel:DWORD dst_unused:UNUSED_PAD src0_sel:DWORD src1_sel:WORD_1
	v_mul_f16_sdwa v88, v24, v59 dst_sel:DWORD dst_unused:UNUSED_PAD src0_sel:DWORD src1_sel:WORD_1
	v_fma_f16 v5, v5, v60, -v85
	v_fma_f16 v63, v63, v60, v86
	v_fma_f16 v0, v0, 2.0, -v3
	v_fma_f16 v37, v37, 2.0, -v38
	v_sub_f16_e32 v4, v1, v4
	v_sub_f16_e32 v61, v39, v61
	s_waitcnt vmcnt(2)
	v_mul_f16_sdwa v89, v80, v58 dst_sel:DWORD dst_unused:UNUSED_PAD src0_sel:DWORD src1_sel:WORD_1
	v_mul_f16_sdwa v90, v25, v58 dst_sel:DWORD dst_unused:UNUSED_PAD src0_sel:DWORD src1_sel:WORD_1
	v_fma_f16 v24, v24, v59, -v87
	v_fma_f16 v65, v65, v59, v88
	v_fma_f16 v1, v1, 2.0, -v4
	v_fma_f16 v39, v39, 2.0, -v61
	v_sub_f16_e32 v5, v6, v5
	v_sub_f16_e32 v63, v62, v63
	v_pack_b32_f16 v0, v0, v37
	v_pack_b32_f16 v3, v3, v38
	s_waitcnt vmcnt(1)
	v_mul_f16_sdwa v91, v82, v57 dst_sel:DWORD dst_unused:UNUSED_PAD src0_sel:DWORD src1_sel:WORD_1
	v_mul_f16_sdwa v92, v32, v57 dst_sel:DWORD dst_unused:UNUSED_PAD src0_sel:DWORD src1_sel:WORD_1
	s_waitcnt vmcnt(0)
	v_mul_f16_sdwa v93, v84, v56 dst_sel:DWORD dst_unused:UNUSED_PAD src0_sel:DWORD src1_sel:WORD_1
	v_fma_f16 v25, v25, v58, -v89
	v_fma_f16 v80, v80, v58, v90
	v_fma_f16 v6, v6, 2.0, -v5
	v_fma_f16 v62, v62, 2.0, -v63
	v_sub_f16_e32 v24, v7, v24
	v_sub_f16_e32 v65, v64, v65
	ds_write2_b32 v40, v0, v3 offset1:13
	v_pack_b32_f16 v0, v1, v39
	v_pack_b32_f16 v1, v4, v61
	v_fma_f16 v32, v32, v57, -v91
	v_fma_f16 v82, v82, v57, v92
	v_fma_f16 v85, v33, v56, -v93
	v_mul_f16_sdwa v33, v33, v56 dst_sel:DWORD dst_unused:UNUSED_PAD src0_sel:DWORD src1_sel:WORD_1
	v_fma_f16 v7, v7, 2.0, -v24
	v_fma_f16 v64, v64, 2.0, -v65
	v_sub_f16_e32 v25, v26, v25
	v_sub_f16_e32 v80, v79, v80
	ds_write2_b32 v40, v0, v1 offset0:26 offset1:39
	v_add_u32_e32 v61, v9, v22
	v_pack_b32_f16 v0, v6, v62
	v_pack_b32_f16 v1, v5, v63
	v_fma_f16 v33, v84, v56, v33
	v_fma_f16 v26, v26, 2.0, -v25
	v_fma_f16 v79, v79, 2.0, -v80
	v_sub_f16_e32 v32, v27, v32
	v_sub_f16_e32 v82, v81, v82
	ds_write2_b32 v61, v0, v1 offset0:52 offset1:65
	v_add_u32_e32 v62, v9, v31
	v_pack_b32_f16 v0, v7, v64
	v_pack_b32_f16 v1, v24, v65
	v_fma_f16 v27, v27, 2.0, -v32
	v_fma_f16 v81, v81, 2.0, -v82
	v_sub_f16_e32 v84, v2, v85
	v_sub_f16_e32 v33, v83, v33
	ds_write2_b32 v62, v0, v1 offset0:78 offset1:91
	v_add_u32_e32 v63, v9, v34
	v_pack_b32_f16 v0, v26, v79
	v_pack_b32_f16 v1, v25, v80
	v_fma_f16 v2, v2, 2.0, -v84
	v_fma_f16 v83, v83, 2.0, -v33
	ds_write2_b32 v63, v0, v1 offset0:104 offset1:117
	v_add_u32_e32 v64, v9, v35
	v_pack_b32_f16 v0, v27, v81
	v_pack_b32_f16 v1, v32, v82
	ds_write2_b32 v64, v0, v1 offset0:130 offset1:143
	v_add_u32_e32 v65, v9, v36
	v_pack_b32_f16 v0, v2, v83
	v_pack_b32_f16 v1, v84, v33
	v_mad_u64_u32 v[32:33], s[0:1], v8, 24, s[0:1]
	ds_write2_b32 v65, v0, v1 offset0:156 offset1:169
	s_waitcnt lgkmcnt(0)
	; wave barrier
	s_waitcnt lgkmcnt(0)
	global_load_dwordx4 v[0:3], v[32:33], off offset:52
	global_load_dwordx2 v[24:25], v[32:33], off offset:68
	global_load_dwordx4 v[4:7], v[32:33], off offset:364
	global_load_dwordx2 v[26:27], v[32:33], off offset:380
	ds_read2_b32 v[32:33], v40 offset0:26 offset1:39
	ds_read2_b32 v[34:35], v40 offset1:13
	ds_read2_b32 v[36:37], v40 offset0:52 offset1:65
	ds_read2_b32 v[38:39], v40 offset0:78 offset1:91
	;; [unrolled: 1-line block ×5, first 2 shown]
	s_waitcnt lgkmcnt(4)
	v_lshrrev_b32_e32 v31, 16, v36
	s_waitcnt lgkmcnt(3)
	v_lshrrev_b32_e32 v79, 16, v38
	v_lshrrev_b32_e32 v22, 16, v32
	s_waitcnt lgkmcnt(2)
	v_lshrrev_b32_e32 v86, 16, v80
	s_waitcnt lgkmcnt(1)
	;; [unrolled: 2-line block ×3, first 2 shown]
	v_lshrrev_b32_e32 v88, 16, v84
	v_lshrrev_b32_e32 v89, 16, v33
	;; [unrolled: 1-line block ×7, first 2 shown]
	s_movk_i32 s0, 0x2b26
	s_movk_i32 s1, 0x3b00
	s_waitcnt vmcnt(3)
	v_mul_f16_sdwa v95, v22, v0 dst_sel:DWORD dst_unused:UNUSED_PAD src0_sel:DWORD src1_sel:WORD_1
	v_fma_f16 v95, v32, v0, -v95
	v_mul_f16_sdwa v32, v32, v0 dst_sel:DWORD dst_unused:UNUSED_PAD src0_sel:DWORD src1_sel:WORD_1
	v_fma_f16 v22, v22, v0, v32
	v_mul_f16_sdwa v32, v31, v1 dst_sel:DWORD dst_unused:UNUSED_PAD src0_sel:DWORD src1_sel:WORD_1
	v_fma_f16 v32, v36, v1, -v32
	v_mul_f16_sdwa v36, v36, v1 dst_sel:DWORD dst_unused:UNUSED_PAD src0_sel:DWORD src1_sel:WORD_1
	v_fma_f16 v31, v31, v1, v36
	;; [unrolled: 4-line block ×4, first 2 shown]
	s_waitcnt vmcnt(2)
	v_mul_f16_sdwa v86, v87, v24 dst_sel:DWORD dst_unused:UNUSED_PAD src0_sel:DWORD src1_sel:WORD_1
	v_fma_f16 v86, v82, v24, -v86
	v_mul_f16_sdwa v82, v82, v24 dst_sel:DWORD dst_unused:UNUSED_PAD src0_sel:DWORD src1_sel:WORD_1
	v_fma_f16 v82, v87, v24, v82
	v_mul_f16_sdwa v87, v88, v25 dst_sel:DWORD dst_unused:UNUSED_PAD src0_sel:DWORD src1_sel:WORD_1
	v_fma_f16 v87, v84, v25, -v87
	v_mul_f16_sdwa v84, v84, v25 dst_sel:DWORD dst_unused:UNUSED_PAD src0_sel:DWORD src1_sel:WORD_1
	v_fma_f16 v84, v88, v25, v84
	s_waitcnt vmcnt(1)
	v_mul_f16_sdwa v88, v89, v4 dst_sel:DWORD dst_unused:UNUSED_PAD src0_sel:DWORD src1_sel:WORD_1
	v_fma_f16 v88, v33, v4, -v88
	v_mul_f16_sdwa v33, v33, v4 dst_sel:DWORD dst_unused:UNUSED_PAD src0_sel:DWORD src1_sel:WORD_1
	v_fma_f16 v33, v89, v4, v33
	v_mul_f16_sdwa v89, v90, v5 dst_sel:DWORD dst_unused:UNUSED_PAD src0_sel:DWORD src1_sel:WORD_1
	v_fma_f16 v89, v37, v5, -v89
	v_mul_f16_sdwa v37, v37, v5 dst_sel:DWORD dst_unused:UNUSED_PAD src0_sel:DWORD src1_sel:WORD_1
	v_fma_f16 v37, v90, v5, v37
	;; [unrolled: 4-line block ×4, first 2 shown]
	s_waitcnt vmcnt(0)
	v_mul_f16_sdwa v92, v93, v26 dst_sel:DWORD dst_unused:UNUSED_PAD src0_sel:DWORD src1_sel:WORD_1
	v_fma_f16 v92, v83, v26, -v92
	v_mul_f16_sdwa v83, v83, v26 dst_sel:DWORD dst_unused:UNUSED_PAD src0_sel:DWORD src1_sel:WORD_1
	v_fma_f16 v83, v93, v26, v83
	v_mul_f16_sdwa v93, v94, v27 dst_sel:DWORD dst_unused:UNUSED_PAD src0_sel:DWORD src1_sel:WORD_1
	v_fma_f16 v93, v85, v27, -v93
	v_mul_f16_sdwa v85, v85, v27 dst_sel:DWORD dst_unused:UNUSED_PAD src0_sel:DWORD src1_sel:WORD_1
	v_fma_f16 v85, v94, v27, v85
	v_add_f16_e32 v94, v95, v87
	v_add_f16_e32 v96, v22, v84
	v_sub_f16_e32 v87, v95, v87
	v_sub_f16_e32 v22, v22, v84
	v_add_f16_e32 v84, v32, v86
	v_add_f16_e32 v95, v31, v82
	v_sub_f16_e32 v32, v32, v86
	v_sub_f16_e32 v31, v31, v82
	;; [unrolled: 4-line block ×4, first 2 shown]
	v_sub_f16_e32 v94, v94, v82
	v_sub_f16_e32 v96, v96, v86
	;; [unrolled: 1-line block ×4, first 2 shown]
	v_add_f16_e32 v99, v36, v32
	v_add_f16_e32 v100, v38, v31
	v_sub_f16_e32 v101, v36, v32
	v_sub_f16_e32 v102, v38, v31
	;; [unrolled: 1-line block ×4, first 2 shown]
	v_add_f16_e32 v79, v82, v79
	v_add_f16_e32 v80, v86, v80
	v_sub_f16_e32 v36, v87, v36
	v_sub_f16_e32 v38, v22, v38
	v_add_f16_e32 v82, v99, v87
	v_add_f16_e32 v22, v100, v22
	;; [unrolled: 1-line block ×3, first 2 shown]
	v_add_f16_sdwa v34, v34, v80 dst_sel:DWORD dst_unused:UNUSED_PAD src0_sel:WORD_1 src1_sel:DWORD
	v_mul_f16_e32 v87, 0x3a52, v94
	v_mul_f16_e32 v94, 0x3a52, v96
	;; [unrolled: 1-line block ×8, first 2 shown]
	v_fma_f16 v79, v79, s4, v86
	v_fma_f16 v80, v80, s4, v34
	;; [unrolled: 1-line block ×4, first 2 shown]
	v_fma_f16 v96, v97, s5, -v96
	v_fma_f16 v99, v98, s5, -v99
	;; [unrolled: 1-line block ×4, first 2 shown]
	v_fma_f16 v97, v36, s7, v100
	v_fma_f16 v98, v38, s7, v101
	v_fma_f16 v31, v31, s1, -v101
	v_fma_f16 v36, v36, s14, -v102
	;; [unrolled: 1-line block ×4, first 2 shown]
	v_add_f16_e32 v84, v84, v79
	v_add_f16_e32 v95, v95, v80
	;; [unrolled: 1-line block ×6, first 2 shown]
	v_fma_f16 v87, v82, s15, v97
	v_fma_f16 v94, v22, s15, v98
	;; [unrolled: 1-line block ×6, first 2 shown]
	v_add_f16_e32 v38, v94, v84
	v_sub_f16_e32 v82, v95, v87
	v_add_f16_e32 v97, v22, v79
	v_sub_f16_e32 v98, v80, v36
	v_sub_f16_e32 v100, v96, v31
	v_add_f16_e32 v31, v31, v96
	v_sub_f16_e32 v96, v79, v22
	v_add_f16_e32 v36, v36, v80
	;; [unrolled: 2-line block ×3, first 2 shown]
	v_add_f16_e32 v22, v88, v93
	v_add_f16_e32 v79, v33, v85
	v_sub_f16_e32 v87, v88, v93
	v_sub_f16_e32 v33, v33, v85
	v_add_f16_e32 v85, v89, v92
	v_add_f16_e32 v88, v37, v83
	v_sub_f16_e32 v89, v89, v92
	v_sub_f16_e32 v37, v37, v83
	;; [unrolled: 4-line block ×3, first 2 shown]
	v_add_f16_e32 v81, v85, v22
	v_add_f16_e32 v91, v88, v79
	;; [unrolled: 1-line block ×3, first 2 shown]
	v_sub_f16_e32 v32, v99, v32
	v_sub_f16_e32 v93, v85, v22
	;; [unrolled: 1-line block ×6, first 2 shown]
	v_add_f16_e32 v95, v90, v89
	v_add_f16_e32 v99, v39, v37
	v_sub_f16_e32 v102, v90, v89
	v_sub_f16_e32 v103, v39, v37
	;; [unrolled: 1-line block ×3, first 2 shown]
	v_add_f16_e32 v81, v83, v81
	v_add_f16_e32 v83, v92, v91
	v_sub_f16_e32 v88, v92, v88
	v_sub_f16_e32 v90, v87, v90
	;; [unrolled: 1-line block ×4, first 2 shown]
	v_add_f16_e32 v33, v99, v33
	v_add_f16_e32 v91, v35, v81
	v_add_f16_sdwa v35, v35, v83 dst_sel:DWORD dst_unused:UNUSED_PAD src0_sel:WORD_1 src1_sel:DWORD
	v_mul_f16_e32 v22, 0x3a52, v22
	v_mul_f16_e32 v79, 0x3a52, v79
	;; [unrolled: 1-line block ×6, first 2 shown]
	v_add_f16_e32 v87, v95, v87
	v_mul_f16_e32 v95, 0x2b26, v88
	v_fma_f16 v81, v81, s4, v91
	v_fma_f16 v83, v83, s4, v35
	;; [unrolled: 1-line block ×4, first 2 shown]
	v_fma_f16 v92, v93, s5, -v92
	v_fma_f16 v22, v93, s6, -v22
	;; [unrolled: 1-line block ×3, first 2 shown]
	v_fma_f16 v93, v90, s7, v99
	v_fma_f16 v89, v89, s1, -v99
	v_fma_f16 v90, v90, s14, -v103
	v_mul_f16_e32 v104, 0x3b00, v37
	v_fma_f16 v95, v94, s5, -v95
	v_fma_f16 v94, v39, s7, v102
	v_add_f16_e32 v85, v85, v81
	v_add_f16_e32 v88, v88, v83
	;; [unrolled: 1-line block ×5, first 2 shown]
	v_fma_f16 v81, v87, s15, v93
	v_fma_f16 v89, v87, s15, v89
	;; [unrolled: 1-line block ×3, first 2 shown]
	v_fma_f16 v37, v37, s1, -v102
	v_fma_f16 v39, v39, s14, -v104
	v_add_f16_e32 v95, v95, v83
	v_fma_f16 v83, v33, s15, v94
	v_sub_f16_e32 v90, v88, v81
	v_sub_f16_e32 v94, v79, v87
	v_add_f16_e32 v87, v87, v79
	v_add_f16_e32 v79, v81, v88
	v_pack_b32_f16 v38, v38, v82
	v_pack_b32_f16 v81, v97, v98
	v_fma_f16 v37, v33, s15, v37
	v_fma_f16 v33, v33, s15, v39
	ds_write2_b32 v40, v38, v81 offset0:26 offset1:52
	v_pack_b32_f16 v38, v100, v101
	v_pack_b32_f16 v31, v31, v32
	v_add_f16_e32 v39, v83, v85
	v_add_f16_e32 v93, v33, v22
	v_pack_b32_f16 v34, v86, v34
	ds_write2_b32 v40, v38, v31 offset0:78 offset1:104
	v_pack_b32_f16 v31, v96, v36
	v_pack_b32_f16 v32, v80, v84
	v_lshl_add_u32 v80, v30, 2, v12
	v_pack_b32_f16 v12, v91, v35
	v_sub_f16_e32 v99, v92, v37
	v_add_f16_e32 v102, v89, v95
	v_add_f16_e32 v37, v37, v92
	v_sub_f16_e32 v89, v95, v89
	ds_write2_b32 v40, v31, v32 offset0:130 offset1:156
	ds_write2_b32 v40, v34, v12 offset1:13
	v_pack_b32_f16 v12, v39, v90
	v_pack_b32_f16 v30, v93, v94
	v_sub_f16_e32 v33, v22, v33
	v_sub_f16_e32 v22, v85, v83
	ds_write2_b32 v80, v12, v30 offset0:39 offset1:65
	v_pack_b32_f16 v12, v99, v102
	v_pack_b32_f16 v30, v37, v89
	ds_write2_b32 v80, v12, v30 offset0:91 offset1:117
	v_pack_b32_f16 v12, v33, v87
	v_pack_b32_f16 v30, v22, v79
	ds_write2_b32 v80, v12, v30 offset0:143 offset1:169
	s_waitcnt lgkmcnt(0)
	; wave barrier
	s_waitcnt lgkmcnt(0)
	global_load_dword v12, v[28:29], off offset:728
	s_add_u32 s0, s12, 0x2d8
	s_addc_u32 s1, s13, 0
	global_load_dword v30, v13, s[0:1] offset:56
	global_load_dword v31, v13, s[0:1] offset:112
	;; [unrolled: 1-line block ×10, first 2 shown]
	ds_read2_b32 v[28:29], v40 offset1:14
	global_load_dword v81, v13, s[0:1] offset:616
	s_waitcnt lgkmcnt(0)
	v_lshrrev_b32_e32 v82, 16, v28
	s_waitcnt vmcnt(11)
	v_mul_f16_sdwa v83, v82, v12 dst_sel:DWORD dst_unused:UNUSED_PAD src0_sel:DWORD src1_sel:WORD_1
	v_fma_f16 v83, v28, v12, -v83
	v_mul_f16_sdwa v28, v28, v12 dst_sel:DWORD dst_unused:UNUSED_PAD src0_sel:DWORD src1_sel:WORD_1
	v_fma_f16 v12, v82, v12, v28
	global_load_dword v82, v13, s[0:1] offset:672
	v_pack_b32_f16 v28, v83, v12
	v_lshrrev_b32_e32 v83, 16, v29
	s_waitcnt vmcnt(11)
	v_mul_f16_sdwa v12, v83, v30 dst_sel:DWORD dst_unused:UNUSED_PAD src0_sel:DWORD src1_sel:WORD_1
	v_fma_f16 v84, v29, v30, -v12
	ds_read2_b32 v[12:13], v40 offset0:28 offset1:42
	v_mul_f16_sdwa v29, v29, v30 dst_sel:DWORD dst_unused:UNUSED_PAD src0_sel:DWORD src1_sel:WORD_1
	v_fma_f16 v29, v83, v30, v29
	v_pack_b32_f16 v29, v84, v29
	ds_write2_b32 v40, v28, v29 offset1:14
	s_waitcnt lgkmcnt(1)
	v_lshrrev_b32_e32 v28, 16, v12
	s_waitcnt vmcnt(10)
	v_mul_f16_sdwa v29, v28, v31 dst_sel:DWORD dst_unused:UNUSED_PAD src0_sel:DWORD src1_sel:WORD_1
	v_fma_f16 v29, v12, v31, -v29
	v_mul_f16_sdwa v12, v12, v31 dst_sel:DWORD dst_unused:UNUSED_PAD src0_sel:DWORD src1_sel:WORD_1
	v_lshrrev_b32_e32 v30, 16, v13
	v_fma_f16 v12, v28, v31, v12
	s_waitcnt vmcnt(9)
	v_mul_f16_sdwa v28, v30, v32 dst_sel:DWORD dst_unused:UNUSED_PAD src0_sel:DWORD src1_sel:WORD_1
	v_pack_b32_f16 v12, v29, v12
	v_fma_f16 v31, v13, v32, -v28
	ds_read2_b32 v[28:29], v40 offset0:56 offset1:70
	v_mul_f16_sdwa v13, v13, v32 dst_sel:DWORD dst_unused:UNUSED_PAD src0_sel:DWORD src1_sel:WORD_1
	v_fma_f16 v13, v30, v32, v13
	v_pack_b32_f16 v13, v31, v13
	ds_write2_b32 v40, v12, v13 offset0:28 offset1:42
	s_waitcnt lgkmcnt(1)
	v_lshrrev_b32_e32 v12, 16, v28
	s_waitcnt vmcnt(8)
	v_mul_f16_sdwa v13, v12, v33 dst_sel:DWORD dst_unused:UNUSED_PAD src0_sel:DWORD src1_sel:WORD_1
	v_fma_f16 v13, v28, v33, -v13
	v_mul_f16_sdwa v28, v28, v33 dst_sel:DWORD dst_unused:UNUSED_PAD src0_sel:DWORD src1_sel:WORD_1
	v_fma_f16 v12, v12, v33, v28
	v_lshrrev_b32_e32 v30, 16, v29
	v_pack_b32_f16 v28, v13, v12
	s_waitcnt vmcnt(7)
	v_mul_f16_sdwa v12, v30, v34 dst_sel:DWORD dst_unused:UNUSED_PAD src0_sel:DWORD src1_sel:WORD_1
	v_fma_f16 v31, v29, v34, -v12
	ds_read2_b32 v[12:13], v40 offset0:84 offset1:98
	v_mul_f16_sdwa v29, v29, v34 dst_sel:DWORD dst_unused:UNUSED_PAD src0_sel:DWORD src1_sel:WORD_1
	v_fma_f16 v29, v30, v34, v29
	v_pack_b32_f16 v29, v31, v29
	ds_write2_b32 v40, v28, v29 offset0:56 offset1:70
	s_waitcnt lgkmcnt(1)
	v_lshrrev_b32_e32 v28, 16, v12
	s_waitcnt vmcnt(6)
	v_mul_f16_sdwa v29, v28, v35 dst_sel:DWORD dst_unused:UNUSED_PAD src0_sel:DWORD src1_sel:WORD_1
	v_fma_f16 v29, v12, v35, -v29
	v_mul_f16_sdwa v12, v12, v35 dst_sel:DWORD dst_unused:UNUSED_PAD src0_sel:DWORD src1_sel:WORD_1
	v_lshrrev_b32_e32 v30, 16, v13
	v_fma_f16 v12, v28, v35, v12
	s_waitcnt vmcnt(5)
	v_mul_f16_sdwa v28, v30, v36 dst_sel:DWORD dst_unused:UNUSED_PAD src0_sel:DWORD src1_sel:WORD_1
	v_pack_b32_f16 v12, v29, v12
	v_fma_f16 v31, v13, v36, -v28
	ds_read2_b32 v[28:29], v40 offset0:112 offset1:126
	v_mul_f16_sdwa v13, v13, v36 dst_sel:DWORD dst_unused:UNUSED_PAD src0_sel:DWORD src1_sel:WORD_1
	v_fma_f16 v13, v30, v36, v13
	v_pack_b32_f16 v13, v31, v13
	ds_write2_b32 v40, v12, v13 offset0:84 offset1:98
	s_waitcnt lgkmcnt(1)
	v_lshrrev_b32_e32 v12, 16, v28
	s_waitcnt vmcnt(4)
	v_mul_f16_sdwa v13, v12, v37 dst_sel:DWORD dst_unused:UNUSED_PAD src0_sel:DWORD src1_sel:WORD_1
	v_fma_f16 v13, v28, v37, -v13
	v_mul_f16_sdwa v28, v28, v37 dst_sel:DWORD dst_unused:UNUSED_PAD src0_sel:DWORD src1_sel:WORD_1
	v_fma_f16 v12, v12, v37, v28
	v_lshrrev_b32_e32 v30, 16, v29
	v_pack_b32_f16 v28, v13, v12
	s_waitcnt vmcnt(3)
	v_mul_f16_sdwa v12, v30, v38 dst_sel:DWORD dst_unused:UNUSED_PAD src0_sel:DWORD src1_sel:WORD_1
	v_fma_f16 v31, v29, v38, -v12
	ds_read2_b32 v[12:13], v40 offset0:140 offset1:154
	v_mul_f16_sdwa v29, v29, v38 dst_sel:DWORD dst_unused:UNUSED_PAD src0_sel:DWORD src1_sel:WORD_1
	v_fma_f16 v29, v30, v38, v29
	v_pack_b32_f16 v29, v31, v29
	ds_write2_b32 v40, v28, v29 offset0:112 offset1:126
	s_waitcnt lgkmcnt(1)
	v_lshrrev_b32_e32 v28, 16, v12
	s_waitcnt vmcnt(2)
	v_mul_f16_sdwa v29, v28, v39 dst_sel:DWORD dst_unused:UNUSED_PAD src0_sel:DWORD src1_sel:WORD_1
	v_fma_f16 v29, v12, v39, -v29
	v_mul_f16_sdwa v12, v12, v39 dst_sel:DWORD dst_unused:UNUSED_PAD src0_sel:DWORD src1_sel:WORD_1
	v_fma_f16 v12, v28, v39, v12
	v_lshrrev_b32_e32 v28, 16, v13
	ds_read_b32 v30, v40 offset:672
	v_pack_b32_f16 v12, v29, v12
	s_waitcnt vmcnt(1)
	v_mul_f16_sdwa v29, v28, v81 dst_sel:DWORD dst_unused:UNUSED_PAD src0_sel:DWORD src1_sel:WORD_1
	v_fma_f16 v29, v13, v81, -v29
	v_mul_f16_sdwa v13, v13, v81 dst_sel:DWORD dst_unused:UNUSED_PAD src0_sel:DWORD src1_sel:WORD_1
	v_fma_f16 v13, v28, v81, v13
	v_pack_b32_f16 v13, v29, v13
	ds_write2_b32 v40, v12, v13 offset0:140 offset1:154
	s_waitcnt lgkmcnt(1)
	v_lshrrev_b32_e32 v12, 16, v30
	s_waitcnt vmcnt(0)
	v_mul_f16_sdwa v13, v12, v82 dst_sel:DWORD dst_unused:UNUSED_PAD src0_sel:DWORD src1_sel:WORD_1
	v_mul_f16_sdwa v28, v30, v82 dst_sel:DWORD dst_unused:UNUSED_PAD src0_sel:DWORD src1_sel:WORD_1
	v_fma_f16 v13, v30, v82, -v13
	v_fma_f16 v12, v12, v82, v28
	v_pack_b32_f16 v12, v13, v12
	ds_write_b32 v40, v12 offset:672
	s_and_saveexec_b64 s[0:1], vcc
	s_cbranch_execz .LBB0_9
; %bb.8:
	v_mov_b32_e32 v38, 0
	global_load_dword v39, v38, s[12:13] offset:780
	global_load_dword v81, v38, s[12:13] offset:836
	;; [unrolled: 1-line block ×12, first 2 shown]
	ds_read2_b32 v[12:13], v9 offset0:13 offset1:27
	ds_read2_b32 v[28:29], v9 offset0:41 offset1:55
	;; [unrolled: 1-line block ×6, first 2 shown]
	global_load_dword v38, v38, s[12:13] offset:1452
	s_waitcnt lgkmcnt(5)
	v_lshrrev_b32_e32 v92, 16, v12
	v_lshrrev_b32_e32 v93, 16, v13
	s_waitcnt lgkmcnt(4)
	v_lshrrev_b32_e32 v94, 16, v28
	v_lshrrev_b32_e32 v95, 16, v29
	;; [unrolled: 3-line block ×5, first 2 shown]
	s_waitcnt vmcnt(12)
	v_mul_f16_sdwa v102, v92, v39 dst_sel:DWORD dst_unused:UNUSED_PAD src0_sel:DWORD src1_sel:WORD_1
	v_mul_f16_sdwa v103, v12, v39 dst_sel:DWORD dst_unused:UNUSED_PAD src0_sel:DWORD src1_sel:WORD_1
	s_waitcnt vmcnt(11)
	v_mul_f16_sdwa v104, v93, v81 dst_sel:DWORD dst_unused:UNUSED_PAD src0_sel:DWORD src1_sel:WORD_1
	v_mul_f16_sdwa v105, v13, v81 dst_sel:DWORD dst_unused:UNUSED_PAD src0_sel:DWORD src1_sel:WORD_1
	;; [unrolled: 3-line block ×10, first 2 shown]
	v_fma_f16 v12, v12, v39, -v102
	v_fma_f16 v39, v92, v39, v103
	v_fma_f16 v13, v13, v81, -v104
	v_fma_f16 v81, v93, v81, v105
	;; [unrolled: 2-line block ×10, first 2 shown]
	v_pack_b32_f16 v12, v12, v39
	v_pack_b32_f16 v13, v13, v81
	;; [unrolled: 1-line block ×10, first 2 shown]
	ds_write2_b32 v9, v12, v13 offset0:13 offset1:27
	ds_write2_b32 v9, v28, v29 offset0:41 offset1:55
	;; [unrolled: 1-line block ×5, first 2 shown]
	s_waitcnt lgkmcnt(5)
	v_lshrrev_b32_e32 v12, 16, v36
	s_waitcnt vmcnt(2)
	v_mul_f16_sdwa v13, v12, v90 dst_sel:DWORD dst_unused:UNUSED_PAD src0_sel:DWORD src1_sel:WORD_1
	v_mul_f16_sdwa v28, v36, v90 dst_sel:DWORD dst_unused:UNUSED_PAD src0_sel:DWORD src1_sel:WORD_1
	v_fma_f16 v13, v36, v90, -v13
	v_fma_f16 v12, v12, v90, v28
	ds_read_b32 v29, v9 offset:724
	v_pack_b32_f16 v12, v13, v12
	v_lshrrev_b32_e32 v13, 16, v37
	s_waitcnt vmcnt(1)
	v_mul_f16_sdwa v28, v13, v91 dst_sel:DWORD dst_unused:UNUSED_PAD src0_sel:DWORD src1_sel:WORD_1
	v_mul_f16_sdwa v30, v37, v91 dst_sel:DWORD dst_unused:UNUSED_PAD src0_sel:DWORD src1_sel:WORD_1
	v_fma_f16 v28, v37, v91, -v28
	v_fma_f16 v13, v13, v91, v30
	v_pack_b32_f16 v13, v28, v13
	ds_write2_b32 v9, v12, v13 offset0:153 offset1:167
	s_waitcnt lgkmcnt(1)
	v_lshrrev_b32_e32 v12, 16, v29
	s_waitcnt vmcnt(0)
	v_mul_f16_sdwa v13, v12, v38 dst_sel:DWORD dst_unused:UNUSED_PAD src0_sel:DWORD src1_sel:WORD_1
	v_mul_f16_sdwa v28, v29, v38 dst_sel:DWORD dst_unused:UNUSED_PAD src0_sel:DWORD src1_sel:WORD_1
	v_fma_f16 v13, v29, v38, -v13
	v_fma_f16 v12, v12, v38, v28
	v_pack_b32_f16 v12, v13, v12
	ds_write_b32 v9, v12 offset:724
.LBB0_9:
	s_or_b64 exec, exec, s[0:1]
	s_waitcnt lgkmcnt(0)
	; wave barrier
	s_waitcnt lgkmcnt(0)
	ds_read2_b32 v[28:29], v40 offset1:14
	ds_read2_b32 v[38:39], v40 offset0:28 offset1:42
	ds_read2_b32 v[36:37], v40 offset0:56 offset1:70
	;; [unrolled: 1-line block ×5, first 2 shown]
	ds_read_b32 v81, v40 offset:672
	v_lshrrev_b32_e32 v13, 16, v77
	s_and_saveexec_b64 s[0:1], vcc
	s_cbranch_execz .LBB0_11
; %bb.10:
	ds_read2_b32 v[22:23], v9 offset0:13 offset1:27
	ds_read2_b32 v[14:15], v9 offset0:41 offset1:55
	;; [unrolled: 1-line block ×6, first 2 shown]
	ds_read_b32 v72, v9 offset:724
	s_mov_b32 s4, 0xffff
	s_waitcnt lgkmcnt(6)
	v_lshrrev_b32_e32 v79, 16, v22
	v_lshrrev_b32_e32 v66, 16, v23
	s_waitcnt lgkmcnt(5)
	v_lshrrev_b32_e32 v67, 16, v14
	v_lshrrev_b32_e32 v68, 16, v15
	s_waitcnt lgkmcnt(4)
	v_lshrrev_b32_e32 v69, 16, v18
	v_lshrrev_b32_e32 v70, 16, v19
	s_waitcnt lgkmcnt(3)
	v_lshrrev_b32_e32 v77, 16, v12
	v_lshrrev_b32_e32 v78, 16, v13
	s_waitcnt lgkmcnt(2)
	v_lshrrev_b32_e32 v74, 16, v20
	v_lshrrev_b32_e32 v75, 16, v21
	s_waitcnt lgkmcnt(1)
	v_lshrrev_b32_e32 v73, 16, v16
	v_lshrrev_b32_e32 v71, 16, v17
	s_waitcnt lgkmcnt(0)
	v_bfi_b32 v76, s4, v12, v72
.LBB0_11:
	s_or_b64 exec, exec, s[0:1]
	s_waitcnt lgkmcnt(6)
	v_pk_add_f16 v12, v28, v29
	s_waitcnt lgkmcnt(0)
	v_pk_add_f16 v82, v81, v29
	v_pk_add_f16 v29, v29, v81 neg_lo:[0,1] neg_hi:[0,1]
	s_mov_b32 s7, 0xb770
	v_pk_add_f16 v12, v12, v38
	v_mul_f16_sdwa v83, v29, s7 dst_sel:DWORD dst_unused:UNUSED_PAD src0_sel:WORD_1 src1_sel:DWORD
	s_movk_i32 s5, 0x3b15
	v_pk_add_f16 v99, v31, v38
	v_pk_add_f16 v38, v38, v31 neg_lo:[0,1] neg_hi:[0,1]
	s_mov_b32 s23, 0xba95
	v_fma_f16 v84, v82, s5, v83
	v_mul_f16_sdwa v100, v38, s23 dst_sel:DWORD dst_unused:UNUSED_PAD src0_sel:WORD_1 src1_sel:DWORD
	s_movk_i32 s21, 0x388b
	v_add_f16_e32 v84, v28, v84
	v_mul_f16_sdwa v85, v82, s5 dst_sel:DWORD dst_unused:UNUSED_PAD src0_sel:WORD_1 src1_sel:DWORD
	s_movk_i32 s16, 0x3770
	v_fma_f16 v83, v82, s5, -v83
	v_fma_f16 v101, v99, s21, v100
	v_fma_f16 v86, v29, s16, v85
	v_add_f16_e32 v83, v28, v83
	v_fma_f16 v85, v29, s7, v85
	s_mov_b32 s14, 0xbbf1
	v_add_f16_e32 v84, v101, v84
	v_mul_f16_sdwa v101, v99, s21 dst_sel:DWORD dst_unused:UNUSED_PAD src0_sel:WORD_1 src1_sel:DWORD
	v_fma_f16 v100, v99, s21, -v100
	v_add_f16_sdwa v85, v28, v85 dst_sel:DWORD dst_unused:UNUSED_PAD src0_sel:WORD_1 src1_sel:DWORD
	v_mul_f16_sdwa v87, v29, s14 dst_sel:DWORD dst_unused:UNUSED_PAD src0_sel:WORD_1 src1_sel:DWORD
	s_movk_i32 s6, 0x2fb7
	v_add_f16_e32 v83, v100, v83
	v_fma_f16 v100, v38, s23, v101
	s_mov_b32 s24, 0xb3a8
	v_fma_f16 v88, v82, s6, v87
	s_movk_i32 s27, 0x3a95
	v_add_f16_e32 v85, v100, v85
	v_mul_f16_sdwa v100, v38, s24 dst_sel:DWORD dst_unused:UNUSED_PAD src0_sel:WORD_1 src1_sel:DWORD
	s_mov_b32 s22, 0xbbc4
	v_add_f16_e32 v88, v28, v88
	v_mul_f16_sdwa v89, v82, s6 dst_sel:DWORD dst_unused:UNUSED_PAD src0_sel:WORD_1 src1_sel:DWORD
	s_movk_i32 s20, 0x3bf1
	v_fma_f16 v87, v82, s6, -v87
	v_fma_f16 v102, v38, s27, v101
	v_fma_f16 v101, v99, s22, v100
	;; [unrolled: 1-line block ×3, first 2 shown]
	v_add_f16_e32 v87, v28, v87
	v_fma_f16 v89, v29, s14, v89
	s_mov_b32 s17, 0xbb7b
	v_add_f16_e32 v88, v101, v88
	v_mul_f16_sdwa v101, v99, s22 dst_sel:DWORD dst_unused:UNUSED_PAD src0_sel:WORD_1 src1_sel:DWORD
	v_fma_f16 v100, v99, s22, -v100
	v_add_f16_sdwa v89, v28, v89 dst_sel:DWORD dst_unused:UNUSED_PAD src0_sel:WORD_1 src1_sel:DWORD
	v_mul_f16_sdwa v91, v29, s17 dst_sel:DWORD dst_unused:UNUSED_PAD src0_sel:WORD_1 src1_sel:DWORD
	s_mov_b32 s15, 0xb5ac
	s_movk_i32 s25, 0x394e
	v_add_f16_e32 v87, v100, v87
	v_fma_f16 v100, v38, s24, v101
	v_add_f16_sdwa v86, v28, v86 dst_sel:DWORD dst_unused:UNUSED_PAD src0_sel:WORD_1 src1_sel:DWORD
	v_fma_f16 v92, v82, s15, v91
	s_mov_b32 s18, 0xb9fd
	s_movk_i32 s28, 0x33a8
	v_add_f16_e32 v89, v100, v89
	v_mul_f16_sdwa v100, v38, s25 dst_sel:DWORD dst_unused:UNUSED_PAD src0_sel:WORD_1 src1_sel:DWORD
	v_add_f16_e32 v92, v28, v92
	v_mul_f16_sdwa v93, v82, s15 dst_sel:DWORD dst_unused:UNUSED_PAD src0_sel:WORD_1 src1_sel:DWORD
	s_movk_i32 s26, 0x3b7b
	v_fma_f16 v91, v82, s15, -v91
	v_add_f16_e32 v86, v102, v86
	v_fma_f16 v102, v38, s28, v101
	v_fma_f16 v101, v99, s18, v100
	;; [unrolled: 1-line block ×3, first 2 shown]
	v_add_f16_e32 v91, v28, v91
	v_fma_f16 v93, v29, s17, v93
	s_mov_b32 s19, 0xb94e
	v_add_f16_e32 v92, v101, v92
	v_mul_f16_sdwa v101, v99, s18 dst_sel:DWORD dst_unused:UNUSED_PAD src0_sel:WORD_1 src1_sel:DWORD
	v_fma_f16 v100, v99, s18, -v100
	v_add_f16_sdwa v93, v28, v93 dst_sel:DWORD dst_unused:UNUSED_PAD src0_sel:WORD_1 src1_sel:DWORD
	v_mul_f16_sdwa v95, v29, s19 dst_sel:DWORD dst_unused:UNUSED_PAD src0_sel:WORD_1 src1_sel:DWORD
	v_add_f16_e32 v91, v100, v91
	v_fma_f16 v100, v38, s25, v101
	v_add_f16_sdwa v90, v28, v90 dst_sel:DWORD dst_unused:UNUSED_PAD src0_sel:WORD_1 src1_sel:DWORD
	v_fma_f16 v96, v82, s18, v95
	v_add_f16_e32 v93, v100, v93
	v_mul_f16_sdwa v100, v38, s20 dst_sel:DWORD dst_unused:UNUSED_PAD src0_sel:WORD_1 src1_sel:DWORD
	v_add_f16_e32 v96, v28, v96
	v_mul_f16_sdwa v97, v82, s18 dst_sel:DWORD dst_unused:UNUSED_PAD src0_sel:WORD_1 src1_sel:DWORD
	v_fma_f16 v95, v82, s18, -v95
	v_add_f16_e32 v90, v102, v90
	v_fma_f16 v102, v38, s19, v101
	v_fma_f16 v101, v99, s6, v100
	v_fma_f16 v98, v29, s25, v97
	v_add_f16_e32 v95, v28, v95
	v_fma_f16 v97, v29, s19, v97
	v_add_f16_e32 v96, v101, v96
	v_mul_f16_sdwa v101, v99, s6 dst_sel:DWORD dst_unused:UNUSED_PAD src0_sel:WORD_1 src1_sel:DWORD
	v_fma_f16 v100, v99, s6, -v100
	v_add_f16_sdwa v97, v28, v97 dst_sel:DWORD dst_unused:UNUSED_PAD src0_sel:WORD_1 src1_sel:DWORD
	v_add_f16_e32 v95, v100, v95
	v_fma_f16 v100, v38, s20, v101
	v_pk_add_f16 v12, v12, v39
	v_add_f16_sdwa v94, v28, v94 dst_sel:DWORD dst_unused:UNUSED_PAD src0_sel:WORD_1 src1_sel:DWORD
	v_add_f16_e32 v97, v100, v97
	v_pk_add_f16 v100, v30, v39
	v_pk_add_f16 v39, v39, v30 neg_lo:[0,1] neg_hi:[0,1]
	v_add_f16_sdwa v98, v28, v98 dst_sel:DWORD dst_unused:UNUSED_PAD src0_sel:WORD_1 src1_sel:DWORD
	v_add_f16_e32 v94, v102, v94
	v_fma_f16 v102, v38, s14, v101
	v_mul_f16_sdwa v101, v39, s14 dst_sel:DWORD dst_unused:UNUSED_PAD src0_sel:WORD_1 src1_sel:DWORD
	v_add_f16_e32 v98, v102, v98
	v_fma_f16 v102, v100, s6, v101
	v_add_f16_e32 v84, v102, v84
	v_mul_f16_sdwa v102, v100, s6 dst_sel:DWORD dst_unused:UNUSED_PAD src0_sel:WORD_1 src1_sel:DWORD
	v_fma_f16 v101, v100, s6, -v101
	v_add_f16_e32 v83, v101, v83
	v_fma_f16 v101, v39, s14, v102
	v_add_f16_e32 v85, v101, v85
	v_mul_f16_sdwa v101, v39, s26 dst_sel:DWORD dst_unused:UNUSED_PAD src0_sel:WORD_1 src1_sel:DWORD
	v_fma_f16 v103, v39, s20, v102
	v_fma_f16 v102, v100, s15, v101
	v_add_f16_e32 v88, v102, v88
	v_mul_f16_sdwa v102, v100, s15 dst_sel:DWORD dst_unused:UNUSED_PAD src0_sel:WORD_1 src1_sel:DWORD
	v_fma_f16 v101, v100, s15, -v101
	v_add_f16_e32 v87, v101, v87
	v_fma_f16 v101, v39, s26, v102
	v_add_f16_e32 v89, v101, v89
	v_mul_f16_sdwa v101, v39, s16 dst_sel:DWORD dst_unused:UNUSED_PAD src0_sel:WORD_1 src1_sel:DWORD
	v_add_f16_e32 v86, v103, v86
	v_fma_f16 v103, v39, s17, v102
	v_fma_f16 v102, v100, s5, v101
	v_add_f16_e32 v92, v102, v92
	v_mul_f16_sdwa v102, v100, s5 dst_sel:DWORD dst_unused:UNUSED_PAD src0_sel:WORD_1 src1_sel:DWORD
	v_fma_f16 v101, v100, s5, -v101
	v_add_f16_e32 v91, v101, v91
	v_fma_f16 v101, v39, s16, v102
	v_add_f16_e32 v93, v101, v93
	v_mul_f16_sdwa v101, v39, s23 dst_sel:DWORD dst_unused:UNUSED_PAD src0_sel:WORD_1 src1_sel:DWORD
	v_add_f16_e32 v90, v103, v90
	v_fma_f16 v103, v39, s7, v102
	v_fma_f16 v102, v100, s21, v101
	v_add_f16_e32 v96, v102, v96
	v_mul_f16_sdwa v102, v100, s21 dst_sel:DWORD dst_unused:UNUSED_PAD src0_sel:WORD_1 src1_sel:DWORD
	v_fma_f16 v101, v100, s21, -v101
	v_add_f16_e32 v95, v101, v95
	v_fma_f16 v101, v39, s23, v102
	v_pk_add_f16 v12, v12, v36
	v_add_f16_e32 v97, v101, v97
	v_pk_add_f16 v101, v35, v36
	v_pk_add_f16 v36, v36, v35 neg_lo:[0,1] neg_hi:[0,1]
	v_add_f16_e32 v94, v103, v94
	v_fma_f16 v103, v39, s27, v102
	v_mul_f16_sdwa v102, v36, s17 dst_sel:DWORD dst_unused:UNUSED_PAD src0_sel:WORD_1 src1_sel:DWORD
	v_add_f16_e32 v98, v103, v98
	v_fma_f16 v103, v101, s15, v102
	v_add_f16_e32 v84, v103, v84
	v_mul_f16_sdwa v103, v101, s15 dst_sel:DWORD dst_unused:UNUSED_PAD src0_sel:WORD_1 src1_sel:DWORD
	v_fma_f16 v102, v101, s15, -v102
	v_add_f16_e32 v83, v102, v83
	v_fma_f16 v102, v36, s17, v103
	v_add_f16_e32 v85, v102, v85
	v_mul_f16_sdwa v102, v36, s16 dst_sel:DWORD dst_unused:UNUSED_PAD src0_sel:WORD_1 src1_sel:DWORD
	v_fma_f16 v104, v36, s26, v103
	v_fma_f16 v103, v101, s5, v102
	v_add_f16_e32 v88, v103, v88
	v_mul_f16_sdwa v103, v101, s5 dst_sel:DWORD dst_unused:UNUSED_PAD src0_sel:WORD_1 src1_sel:DWORD
	v_fma_f16 v102, v101, s5, -v102
	v_add_f16_e32 v87, v102, v87
	v_fma_f16 v102, v36, s16, v103
	v_add_f16_e32 v89, v102, v89
	v_mul_f16_sdwa v102, v36, s14 dst_sel:DWORD dst_unused:UNUSED_PAD src0_sel:WORD_1 src1_sel:DWORD
	v_add_f16_e32 v86, v104, v86
	v_fma_f16 v104, v36, s7, v103
	v_fma_f16 v103, v101, s6, v102
	v_add_f16_e32 v92, v103, v92
	v_mul_f16_sdwa v103, v101, s6 dst_sel:DWORD dst_unused:UNUSED_PAD src0_sel:WORD_1 src1_sel:DWORD
	v_fma_f16 v102, v101, s6, -v102
	v_add_f16_e32 v91, v102, v91
	v_fma_f16 v102, v36, s14, v103
	v_add_f16_e32 v93, v102, v93
	v_mul_f16_sdwa v102, v36, s28 dst_sel:DWORD dst_unused:UNUSED_PAD src0_sel:WORD_1 src1_sel:DWORD
	v_pk_add_f16 v12, v12, v37
	v_add_f16_e32 v90, v104, v90
	v_fma_f16 v104, v36, s20, v103
	v_fma_f16 v103, v101, s22, v102
	v_pk_add_f16 v12, v12, v32
	v_add_f16_e32 v96, v103, v96
	v_mul_f16_sdwa v103, v101, s22 dst_sel:DWORD dst_unused:UNUSED_PAD src0_sel:WORD_1 src1_sel:DWORD
	v_fma_f16 v102, v101, s22, -v102
	v_pk_add_f16 v12, v12, v33
	v_add_f16_e32 v95, v102, v95
	v_fma_f16 v102, v36, s28, v103
	v_pk_add_f16 v12, v12, v34
	v_add_f16_e32 v97, v102, v97
	v_pk_add_f16 v102, v34, v37
	v_pk_add_f16 v34, v37, v34 neg_lo:[0,1] neg_hi:[0,1]
	v_add_f16_e32 v94, v104, v94
	v_mul_f16_sdwa v37, v34, s19 dst_sel:DWORD dst_unused:UNUSED_PAD src0_sel:WORD_1 src1_sel:DWORD
	v_fma_f16 v104, v36, s24, v103
	v_fma_f16 v103, v102, s18, v37
	v_add_f16_e32 v84, v103, v84
	v_mul_f16_sdwa v103, v102, s18 dst_sel:DWORD dst_unused:UNUSED_PAD src0_sel:WORD_1 src1_sel:DWORD
	v_fma_f16 v37, v102, s18, -v37
	v_add_f16_e32 v37, v37, v83
	v_fma_f16 v83, v34, s19, v103
	v_add_f16_e32 v83, v83, v85
	v_mul_f16_sdwa v85, v34, s23 dst_sel:DWORD dst_unused:UNUSED_PAD src0_sel:WORD_1 src1_sel:DWORD
	v_add_f16_e32 v98, v104, v98
	v_fma_f16 v104, v34, s25, v103
	v_fma_f16 v103, v102, s21, v85
	v_add_f16_e32 v88, v103, v88
	v_mul_f16_sdwa v103, v102, s21 dst_sel:DWORD dst_unused:UNUSED_PAD src0_sel:WORD_1 src1_sel:DWORD
	v_fma_f16 v85, v102, s21, -v85
	v_add_f16_e32 v85, v85, v87
	v_fma_f16 v87, v34, s23, v103
	v_add_f16_e32 v87, v87, v89
	v_mul_f16_sdwa v89, v34, s28 dst_sel:DWORD dst_unused:UNUSED_PAD src0_sel:WORD_1 src1_sel:DWORD
	v_add_f16_e32 v86, v104, v86
	;; [unrolled: 10-line block ×3, first 2 shown]
	v_fma_f16 v104, v34, s24, v103
	v_fma_f16 v103, v102, s5, v93
	v_add_f16_e32 v96, v103, v96
	v_mul_f16_sdwa v103, v102, s5 dst_sel:DWORD dst_unused:UNUSED_PAD src0_sel:WORD_1 src1_sel:DWORD
	v_fma_f16 v93, v102, s5, -v93
	v_add_f16_e32 v93, v93, v95
	v_fma_f16 v95, v34, s16, v103
	v_add_f16_e32 v95, v95, v97
	v_pk_add_f16 v97, v32, v33 neg_lo:[0,1] neg_hi:[0,1]
	v_pk_add_f16 v12, v12, v35
	v_add_f16_e32 v94, v104, v94
	v_fma_f16 v104, v34, s7, v103
	v_pk_mul_f16 v103, v97, s24 op_sel_hi:[1,0]
	v_pk_add_f16 v32, v33, v32
	v_pk_add_f16 v12, v12, v30
	v_pk_fma_f16 v33, v32, s22, v103 op_sel:[0,0,1] op_sel_hi:[1,0,0]
	v_pk_add_f16 v12, v12, v31
	v_pk_fma_f16 v31, v32, s22, v103 op_sel:[0,0,1] op_sel_hi:[1,0,0] neg_lo:[0,0,1] neg_hi:[0,0,1]
	s_mov_b32 s4, 0xffff
	v_pk_mul_f16 v30, v32, s22 op_sel_hi:[1,0]
	v_bfi_b32 v31, s4, v33, v31
	v_pack_b32_f16 v33, v84, v86
	v_add_f16_e32 v98, v104, v98
	v_mul_f16_sdwa v104, v97, s19 dst_sel:DWORD dst_unused:UNUSED_PAD src0_sel:WORD_1 src1_sel:DWORD
	v_pk_add_f16 v31, v31, v33
	v_sub_f16_sdwa v33, v30, v103 dst_sel:DWORD dst_unused:UNUSED_PAD src0_sel:DWORD src1_sel:WORD_1
	v_add_f16_sdwa v30, v103, v30 dst_sel:DWORD dst_unused:UNUSED_PAD src0_sel:DWORD src1_sel:WORD_1
	v_add_f16_e32 v30, v30, v83
	v_fma_f16 v83, v32, s18, -v104
	v_add_f16_e32 v33, v33, v37
	v_mul_f16_sdwa v37, v32, s18 dst_sel:DWORD dst_unused:UNUSED_PAD src0_sel:WORD_1 src1_sel:DWORD
	v_add_f16_e32 v83, v83, v85
	v_mul_f16_sdwa v85, v32, s21 dst_sel:DWORD dst_unused:UNUSED_PAD src0_sel:WORD_1 src1_sel:DWORD
	v_mul_f16_sdwa v105, v97, s27 dst_sel:DWORD dst_unused:UNUSED_PAD src0_sel:WORD_1 src1_sel:DWORD
	;; [unrolled: 1-line block ×3, first 2 shown]
	v_pk_add_f16 v12, v12, v81
	v_fma_f16 v81, v97, s25, v37
	v_fma_f16 v37, v97, s19, v37
	;; [unrolled: 1-line block ×4, first 2 shown]
	s_waitcnt lgkmcnt(0)
	; wave barrier
	v_add_f16_e32 v37, v37, v87
	v_fma_f16 v87, v32, s21, -v105
	v_add_f16_e32 v85, v85, v91
	v_fma_f16 v91, v32, s15, -v106
	ds_write2_b32 v54, v12, v31 offset1:1
	v_pk_mul_f16 v12, v29, s23 op_sel_hi:[1,0]
	v_fma_f16 v84, v32, s21, v105
	v_add_f16_e32 v87, v87, v89
	v_mul_f16_sdwa v89, v32, s15 dst_sel:DWORD dst_unused:UNUSED_PAD src0_sel:WORD_1 src1_sel:DWORD
	v_add_f16_e32 v91, v91, v93
	v_pk_fma_f16 v31, v82, s21, v12 op_sel:[0,0,1] op_sel_hi:[1,0,0]
	v_pk_fma_f16 v12, v82, s21, v12 op_sel:[0,0,1] op_sel_hi:[1,0,0] neg_lo:[0,0,1] neg_hi:[0,0,1]
	v_pk_mul_f16 v93, v38, s17 op_sel_hi:[1,0]
	v_add_f16_e32 v81, v81, v90
	v_add_f16_e32 v84, v84, v92
	v_add_f16_e32 v86, v86, v94
	v_fma_f16 v90, v97, s26, v89
	v_fma_f16 v89, v97, s17, v89
	v_bfi_b32 v92, s4, v31, v12
	v_pk_fma_f16 v94, v99, s15, v93 op_sel:[0,0,1] op_sel_hi:[1,0,0]
	v_pk_fma_f16 v93, v99, s15, v93 op_sel:[0,0,1] op_sel_hi:[1,0,0] neg_lo:[0,0,1] neg_hi:[0,0,1]
	v_fma_f16 v35, v32, s18, v104
	v_add_f16_e32 v89, v89, v95
	v_pk_add_f16 v92, v28, v92
	v_bfi_b32 v95, s4, v94, v93
	v_add_f16_e32 v35, v35, v88
	v_fma_f16 v88, v32, s15, v106
	v_pk_add_f16 v92, v95, v92
	v_pk_mul_f16 v95, v39, s24 op_sel_hi:[1,0]
	v_add_f16_e32 v88, v88, v96
	v_pk_fma_f16 v96, v100, s22, v95 op_sel:[0,0,1] op_sel_hi:[1,0,0]
	v_pk_fma_f16 v95, v100, s22, v95 op_sel:[0,0,1] op_sel_hi:[1,0,0] neg_lo:[0,0,1] neg_hi:[0,0,1]
	v_add_f16_e32 v90, v90, v98
	v_bfi_b32 v98, s4, v96, v95
	v_pk_add_f16 v92, v98, v92
	v_pk_mul_f16 v98, v36, s25 op_sel_hi:[1,0]
	v_pack_b32_f16 v35, v35, v81
	v_pk_fma_f16 v103, v101, s18, v98 op_sel:[0,0,1] op_sel_hi:[1,0,0]
	v_pk_fma_f16 v98, v101, s18, v98 op_sel:[0,0,1] op_sel_hi:[1,0,0] neg_lo:[0,0,1] neg_hi:[0,0,1]
	v_pack_b32_f16 v81, v84, v86
	v_bfi_b32 v104, s4, v103, v98
	v_pk_add_f16 v92, v104, v92
	v_pk_mul_f16 v104, v34, s20 op_sel_hi:[1,0]
	v_add_f16_e32 v12, v28, v12
	v_pk_fma_f16 v105, v102, s6, v104 op_sel:[0,0,1] op_sel_hi:[1,0,0]
	v_pk_fma_f16 v104, v102, s6, v104 op_sel:[0,0,1] op_sel_hi:[1,0,0] neg_lo:[0,0,1] neg_hi:[0,0,1]
	v_add_f16_sdwa v31, v28, v31 dst_sel:DWORD dst_unused:UNUSED_PAD src0_sel:WORD_1 src1_sel:WORD_1
	v_bfi_b32 v106, s4, v105, v104
	v_pk_add_f16 v92, v106, v92
	v_pk_mul_f16 v106, v97, s16 op_sel_hi:[1,0]
	v_add_f16_e32 v12, v93, v12
	v_pk_fma_f16 v107, v32, s5, v106 op_sel:[0,0,1] op_sel_hi:[1,0,0]
	v_pk_fma_f16 v106, v32, s5, v106 op_sel:[0,0,1] op_sel_hi:[1,0,0] neg_lo:[0,0,1] neg_hi:[0,0,1]
	v_pk_mul_f16 v32, v32, s6 op_sel_hi:[1,0]
	v_bfi_b32 v108, s4, v107, v106
	v_pk_add_f16 v92, v108, v92
	ds_write2_b32 v54, v92, v35 offset0:2 offset1:3
	v_pack_b32_f16 v35, v88, v90
	ds_write2_b32 v54, v81, v35 offset0:4 offset1:5
	v_pk_mul_f16 v35, v82, s22 op_sel_hi:[1,0]
	v_add_f16_sdwa v31, v94, v31 dst_sel:DWORD dst_unused:UNUSED_PAD src0_sel:WORD_1 src1_sel:DWORD
	v_pk_fma_f16 v81, v29, s24, v35 op_sel:[0,0,1] op_sel_hi:[1,0,0]
	v_pk_fma_f16 v29, v29, s24, v35 op_sel:[0,0,1] op_sel_hi:[1,0,0] neg_lo:[1,0,0] neg_hi:[1,0,0]
	v_alignbit_b32 v82, s0, v81, 16
	v_pk_add_f16 v82, v28, v82
	v_pk_add_f16 v29, v28, v29 op_sel:[1,0] op_sel_hi:[0,1]
	v_alignbit_b32 v28, s0, v28, 16
	v_pk_mul_f16 v35, v99, s5 op_sel_hi:[1,0]
	v_pk_add_f16 v28, v28, v81
	v_pk_fma_f16 v81, v38, s16, v35 op_sel:[0,0,1] op_sel_hi:[1,0,0]
	v_pk_fma_f16 v35, v38, s16, v35 op_sel:[0,0,1] op_sel_hi:[1,0,0] neg_lo:[1,0,0] neg_hi:[1,0,0]
	v_pk_add_f16 v28, v81, v28
	v_pk_add_f16 v29, v35, v29
	v_pk_mul_f16 v35, v100, s18 op_sel_hi:[1,0]
	v_alignbit_b32 v84, s0, v81, 16
	v_pk_fma_f16 v38, v39, s19, v35 op_sel:[0,0,1] op_sel_hi:[1,0,0]
	v_pk_fma_f16 v35, v39, s19, v35 op_sel:[0,0,1] op_sel_hi:[1,0,0] neg_lo:[1,0,0] neg_hi:[1,0,0]
	v_alignbit_b32 v81, s0, v38, 16
	v_pk_add_f16 v29, v35, v29
	v_pk_mul_f16 v35, v101, s21 op_sel_hi:[1,0]
	v_pk_add_f16 v28, v38, v28
	v_pk_fma_f16 v38, v36, s27, v35 op_sel:[0,0,1] op_sel_hi:[1,0,0]
	v_pk_fma_f16 v35, v36, s27, v35 op_sel:[0,0,1] op_sel_hi:[1,0,0] neg_lo:[1,0,0] neg_hi:[1,0,0]
	v_pk_add_f16 v82, v84, v82
	v_pk_add_f16 v29, v35, v29
	v_pk_mul_f16 v35, v102, s15 op_sel_hi:[1,0]
	v_pk_add_f16 v81, v81, v82
	v_alignbit_b32 v39, s0, v38, 16
	v_pk_fma_f16 v36, v34, s17, v35 op_sel:[0,0,1] op_sel_hi:[1,0,0]
	v_pk_fma_f16 v34, v34, s17, v35 op_sel:[0,0,1] op_sel_hi:[1,0,0] neg_lo:[1,0,0] neg_hi:[1,0,0]
	v_pk_add_f16 v39, v39, v81
	v_pk_add_f16 v28, v38, v28
	v_alignbit_b32 v38, s0, v36, 16
	v_pk_add_f16 v29, v34, v29
	v_pk_fma_f16 v34, v97, s20, v32 op_sel:[0,0,1] op_sel_hi:[1,0,0]
	v_add_f16_e32 v12, v95, v12
	v_add_f16_sdwa v31, v96, v31 dst_sel:DWORD dst_unused:UNUSED_PAD src0_sel:WORD_1 src1_sel:DWORD
	v_pk_add_f16 v38, v38, v39
	v_pk_add_f16 v28, v36, v28
	v_alignbit_b32 v35, s0, v34, 16
	v_pk_fma_f16 v32, v97, s20, v32 op_sel:[0,0,1] op_sel_hi:[1,0,0] neg_lo:[1,0,0] neg_hi:[1,0,0]
	v_add_f16_e32 v12, v98, v12
	v_add_f16_sdwa v31, v103, v31 dst_sel:DWORD dst_unused:UNUSED_PAD src0_sel:WORD_1 src1_sel:DWORD
	v_pk_add_f16 v35, v35, v38
	v_pk_add_f16 v29, v32, v29
	;; [unrolled: 1-line block ×3, first 2 shown]
	v_add_f16_e32 v12, v104, v12
	v_add_f16_sdwa v31, v105, v31 dst_sel:DWORD dst_unused:UNUSED_PAD src0_sel:WORD_1 src1_sel:DWORD
	v_alignbit_b32 v28, v28, v29, 16
	v_pack_b32_f16 v29, v35, v29
	v_add_f16_e32 v12, v106, v12
	v_add_f16_sdwa v31, v107, v31 dst_sel:DWORD dst_unused:UNUSED_PAD src0_sel:WORD_1 src1_sel:DWORD
	ds_write2_b32 v54, v29, v28 offset0:6 offset1:7
	v_pack_b32_f16 v28, v87, v85
	v_pack_b32_f16 v29, v91, v89
	ds_write2_b32 v54, v29, v28 offset0:8 offset1:9
	v_pack_b32_f16 v12, v12, v31
	v_pack_b32_f16 v28, v83, v37
	v_add_u32_e32 v80, 52, v80
	ds_write2_b32 v54, v28, v12 offset0:10 offset1:11
	v_pack_b32_f16 v12, v33, v30
	ds_write_b32 v54, v12 offset:48
	s_and_saveexec_b64 s[0:1], vcc
	s_cbranch_execz .LBB0_13
; %bb.12:
	v_add_f16_sdwa v12, v76, v66 dst_sel:DWORD dst_unused:UNUSED_PAD src0_sel:WORD_1 src1_sel:DWORD
	v_mul_f16_e32 v28, 0xbbc4, v12
	v_sub_f16_e32 v29, v23, v72
	v_add_f16_e32 v31, v71, v67
	v_fma_f16 v30, v29, s28, v28
	v_mul_f16_e32 v32, 0x3b15, v31
	v_sub_f16_e32 v33, v14, v17
	v_add_f16_e32 v30, v79, v30
	v_fma_f16 v34, v33, s7, v32
	v_add_f16_e32 v30, v34, v30
	v_add_f16_e32 v34, v73, v68
	v_mul_f16_e32 v35, 0xb9fd, v34
	v_sub_f16_e32 v36, v15, v16
	v_fma_f16 v37, v36, s25, v35
	v_add_f16_e32 v30, v37, v30
	v_add_f16_e32 v37, v75, v69
	v_mul_f16_e32 v38, 0x388b, v37
	v_sub_f16_e32 v39, v18, v21
	;; [unrolled: 5-line block ×4, first 2 shown]
	v_fma_f16 v86, v85, s14, v84
	v_sub_f16_sdwa v87, v66, v76 dst_sel:DWORD dst_unused:UNUSED_PAD src0_sel:DWORD src1_sel:WORD_1
	v_add_f16_e32 v30, v86, v30
	v_add_f16_e32 v86, v72, v23
	v_mul_f16_e32 v88, 0xb3a8, v87
	v_sub_f16_e32 v91, v67, v71
	v_fma_f16 v89, v86, s22, v88
	v_add_f16_e32 v90, v17, v14
	v_mul_f16_e32 v92, 0x3770, v91
	v_add_f16_e32 v89, v22, v89
	v_fma_f16 v93, v90, s5, v92
	v_sub_f16_e32 v94, v68, v73
	v_add_f16_e32 v89, v93, v89
	v_add_f16_e32 v93, v16, v15
	v_mul_f16_e32 v95, 0xb94e, v94
	v_fma_f16 v96, v93, s18, v95
	v_sub_f16_e32 v97, v69, v75
	v_add_f16_e32 v89, v96, v89
	v_add_f16_e32 v96, v21, v18
	v_mul_f16_e32 v98, 0x3a95, v97
	;; [unrolled: 5-line block ×4, first 2 shown]
	v_fma_f16 v105, v102, s6, v104
	v_add_f16_e32 v89, v105, v89
	v_mul_f16_e32 v105, 0xb9fd, v12
	v_fma_f16 v106, v29, s25, v105
	v_mul_f16_e32 v107, 0x2fb7, v31
	v_add_f16_e32 v106, v79, v106
	v_fma_f16 v108, v33, s14, v107
	v_add_f16_e32 v106, v108, v106
	v_mul_f16_e32 v108, 0x388b, v34
	v_fma_f16 v109, v36, s27, v108
	v_add_f16_e32 v106, v109, v106
	v_mul_f16_e32 v109, 0xbbc4, v37
	;; [unrolled: 3-line block ×5, first 2 shown]
	v_fma_f16 v113, v86, s18, v112
	v_mul_f16_e32 v114, 0x3bf1, v91
	v_add_f16_e32 v113, v22, v113
	v_fma_f16 v115, v90, s6, v114
	v_add_f16_e32 v113, v115, v113
	v_mul_f16_e32 v115, 0xba95, v94
	v_fma_f16 v116, v93, s21, v115
	v_add_f16_e32 v113, v116, v113
	v_mul_f16_e32 v116, 0x33a8, v97
	v_fma_f16 v117, v96, s22, v116
	v_add_f16_e32 v23, v23, v22
	v_add_f16_e32 v113, v117, v113
	v_mul_f16_e32 v117, 0x3770, v100
	v_add_f16_e32 v14, v14, v23
	v_fma_f16 v118, v99, s5, v117
	v_add_f16_e32 v14, v15, v14
	v_add_f16_e32 v113, v118, v113
	v_mul_f16_e32 v118, 0xbb7b, v103
	v_add_f16_e32 v14, v18, v14
	;; [unrolled: 5-line block ×3, first 2 shown]
	v_fma_f16 v120, v29, s26, v119
	v_mul_f16_e32 v121, 0xb9fd, v31
	v_add_f16_e32 v13, v13, v14
	v_add_f16_e32 v120, v79, v120
	v_fma_f16 v122, v33, s19, v121
	v_add_f16_e32 v13, v20, v13
	v_add_f16_e32 v120, v122, v120
	v_mul_f16_e32 v122, 0x3b15, v34
	v_add_f16_e32 v13, v21, v13
	v_fma_f16 v123, v36, s7, v122
	v_add_f16_e32 v13, v16, v13
	v_add_f16_e32 v120, v123, v120
	v_mul_f16_e32 v123, 0x2fb7, v37
	v_add_f16_e32 v13, v17, v13
	v_fma_f16 v17, v29, s24, v28
	v_fma_f16 v124, v39, s20, v123
	v_add_f16_e32 v17, v79, v17
	v_fma_f16 v28, v33, s16, v32
	v_add_f16_e32 v120, v124, v120
	v_mul_f16_e32 v124, 0xbbc4, v54
	v_add_f16_e32 v17, v28, v17
	v_fma_f16 v28, v36, s19, v35
	v_fma_f16 v125, v82, s24, v124
	v_add_f16_e32 v17, v28, v17
	v_fma_f16 v28, v39, s27, v38
	;; [unrolled: 7-line block ×3, first 2 shown]
	v_add_f16_e32 v120, v126, v120
	v_mul_f16_e32 v126, 0xbb7b, v87
	v_add_f16_e32 v17, v28, v17
	v_fma_f16 v28, v86, s22, -v88
	v_fma_f16 v127, v86, s15, v126
	v_mul_f16_e32 v128, 0x394e, v91
	v_add_f16_e32 v28, v22, v28
	v_fma_f16 v32, v90, s5, -v92
	v_add_f16_e32 v127, v22, v127
	v_fma_f16 v129, v90, s18, v128
	v_add_f16_e32 v28, v32, v28
	v_fma_f16 v32, v93, s18, -v95
	v_add_f16_e32 v127, v129, v127
	v_mul_f16_e32 v129, 0x3770, v94
	v_add_f16_e32 v28, v32, v28
	v_fma_f16 v32, v96, s21, -v98
	v_fma_f16 v130, v93, s5, v129
	v_add_f16_e32 v28, v32, v28
	v_fma_f16 v32, v99, s15, -v101
	v_add_f16_e32 v127, v130, v127
	v_mul_f16_e32 v130, 0xbbf1, v97
	v_add_f16_e32 v28, v32, v28
	v_fma_f16 v32, v102, s6, -v104
	v_fma_f16 v131, v96, s6, v130
	v_add_f16_e32 v28, v32, v28
	v_fma_f16 v32, v29, s19, v105
	v_add_f16_e32 v127, v131, v127
	v_mul_f16_e32 v131, 0x33a8, v100
	v_add_f16_e32 v32, v79, v32
	v_fma_f16 v35, v33, s20, v107
	v_fma_f16 v132, v99, s22, v131
	v_add_f16_e32 v32, v35, v32
	v_fma_f16 v35, v36, s23, v108
	v_add_f16_e32 v127, v132, v127
	v_mul_f16_e32 v132, 0x3a95, v103
	v_add_f16_e32 v32, v35, v32
	v_fma_f16 v35, v39, s28, v109
	;; [unrolled: 7-line block ×3, first 2 shown]
	v_fma_f16 v134, v29, s20, v133
	v_mul_f16_e32 v135, 0xbbc4, v31
	v_add_f16_e32 v32, v35, v32
	v_fma_f16 v35, v86, s18, -v112
	v_add_f16_e32 v134, v79, v134
	v_fma_f16 v136, v33, s28, v135
	v_add_f16_e32 v35, v22, v35
	v_fma_f16 v38, v90, s6, -v114
	v_add_f16_e32 v134, v136, v134
	v_mul_f16_e32 v136, 0xb5ac, v34
	v_add_f16_e32 v35, v38, v35
	v_fma_f16 v38, v93, s21, -v115
	v_fma_f16 v137, v36, s17, v136
	v_add_f16_e32 v35, v38, v35
	v_fma_f16 v38, v96, s22, -v116
	v_add_f16_e32 v134, v137, v134
	v_mul_f16_e32 v137, 0x3b15, v37
	v_add_f16_e32 v35, v38, v35
	v_fma_f16 v38, v99, s5, -v117
	v_fma_f16 v138, v39, s7, v137
	v_add_f16_e32 v35, v38, v35
	v_fma_f16 v38, v102, s15, -v118
	v_add_f16_e32 v134, v138, v134
	v_mul_f16_e32 v138, 0x388b, v54
	v_add_f16_e32 v35, v38, v35
	v_fma_f16 v38, v29, s17, v119
	v_fma_f16 v139, v82, s27, v138
	v_add_f16_e32 v16, v66, v79
	v_add_f16_e32 v38, v79, v38
	v_fma_f16 v66, v33, s25, v121
	v_add_f16_e32 v134, v139, v134
	v_mul_f16_e32 v139, 0xb9fd, v83
	v_add_f16_e32 v38, v66, v38
	v_fma_f16 v66, v36, s16, v122
	v_fma_f16 v140, v85, s25, v139
	v_add_f16_e32 v38, v66, v38
	v_fma_f16 v66, v39, s14, v123
	v_add_f16_e32 v134, v140, v134
	v_mul_f16_e32 v140, 0xbbf1, v87
	v_add_f16_e32 v38, v66, v38
	v_fma_f16 v66, v82, s28, v124
	v_fma_f16 v141, v86, s6, v140
	v_mul_f16_e32 v142, 0xb3a8, v91
	v_add_f16_e32 v38, v66, v38
	v_fma_f16 v66, v85, s27, v125
	v_add_f16_e32 v141, v22, v141
	v_fma_f16 v143, v90, s22, v142
	v_add_f16_e32 v38, v66, v38
	v_fma_f16 v66, v86, s15, -v126
	v_add_f16_e32 v141, v143, v141
	v_mul_f16_e32 v143, 0x3b7b, v94
	v_add_f16_e32 v16, v67, v16
	v_add_f16_e32 v66, v22, v66
	v_fma_f16 v67, v90, s18, -v128
	v_fma_f16 v144, v93, s15, v143
	v_add_f16_e32 v66, v67, v66
	v_fma_f16 v67, v93, s5, -v129
	v_add_f16_e32 v141, v144, v141
	v_mul_f16_e32 v144, 0x3770, v97
	v_add_f16_e32 v66, v67, v66
	v_fma_f16 v67, v96, s6, -v130
	v_fma_f16 v145, v96, s5, v144
	v_add_f16_e32 v66, v67, v66
	v_fma_f16 v67, v99, s22, -v131
	v_add_f16_e32 v141, v145, v141
	v_mul_f16_e32 v145, 0xba95, v100
	v_add_f16_e32 v66, v67, v66
	v_fma_f16 v67, v102, s21, -v132
	v_fma_f16 v146, v99, s21, v145
	v_add_f16_e32 v66, v67, v66
	v_fma_f16 v67, v29, s14, v133
	v_add_f16_e32 v141, v146, v141
	v_mul_f16_e32 v146, 0xb94e, v103
	v_add_f16_e32 v16, v68, v16
	v_add_f16_e32 v67, v79, v67
	v_fma_f16 v68, v33, s24, v135
	v_fma_f16 v147, v102, s18, v146
	v_add_f16_e32 v67, v68, v67
	v_fma_f16 v68, v36, s26, v136
	v_add_f16_e32 v141, v147, v141
	v_mul_f16_e32 v147, 0x388b, v12
	v_add_f16_e32 v67, v68, v67
	v_fma_f16 v68, v39, s16, v137
	v_fma_f16 v148, v29, s27, v147
	v_mul_f16_e32 v149, 0xb5ac, v31
	v_add_f16_e32 v67, v68, v67
	v_fma_f16 v68, v82, s23, v138
	v_add_f16_e32 v148, v79, v148
	v_fma_f16 v150, v33, s26, v149
	;; [unrolled: 2-line block ×3, first 2 shown]
	v_add_f16_e32 v148, v150, v148
	v_mul_f16_e32 v150, 0xbbc4, v34
	v_add_f16_e32 v67, v68, v67
	v_fma_f16 v68, v86, s6, -v140
	v_fma_f16 v151, v36, s28, v150
	v_add_f16_e32 v16, v69, v16
	v_add_f16_e32 v68, v22, v68
	v_fma_f16 v69, v90, s22, -v142
	v_add_f16_e32 v148, v151, v148
	v_mul_f16_e32 v151, 0xb9fd, v37
	v_add_f16_e32 v68, v69, v68
	v_fma_f16 v69, v93, s15, -v143
	v_fma_f16 v152, v39, s19, v151
	v_add_f16_e32 v68, v69, v68
	v_fma_f16 v69, v96, s5, -v144
	v_add_f16_e32 v148, v152, v148
	v_mul_f16_e32 v152, 0x2fb7, v54
	v_add_f16_e32 v68, v69, v68
	v_fma_f16 v69, v99, s21, -v145
	v_fma_f16 v153, v82, s14, v152
	v_add_f16_e32 v68, v69, v68
	v_fma_f16 v69, v102, s18, -v146
	v_add_f16_e32 v148, v153, v148
	v_mul_f16_e32 v153, 0x3b15, v83
	v_add_f16_e32 v68, v69, v68
	v_fma_f16 v69, v29, s23, v147
	v_fma_f16 v154, v85, s7, v153
	v_add_f16_e32 v16, v70, v16
	v_add_f16_e32 v69, v79, v69
	v_fma_f16 v70, v33, s17, v149
	v_add_f16_e32 v148, v154, v148
	v_mul_f16_e32 v154, 0xba95, v87
	v_add_f16_e32 v69, v70, v69
	v_fma_f16 v70, v36, s24, v150
	v_fma_f16 v155, v86, s21, v154
	v_mul_f16_e32 v15, 0xbb7b, v91
	v_add_f16_e32 v69, v70, v69
	v_fma_f16 v70, v39, s25, v151
	v_add_f16_e32 v155, v22, v155
	v_fma_f16 v23, v90, s15, v15
	;; [unrolled: 2-line block ×3, first 2 shown]
	v_add_f16_e32 v23, v23, v155
	v_mul_f16_e32 v155, 0xb3a8, v94
	v_add_f16_e32 v69, v70, v69
	v_fma_f16 v70, v85, s16, v153
	v_fma_f16 v156, v93, s22, v155
	v_mul_f16_e32 v18, 0x394e, v97
	v_add_f16_e32 v69, v70, v69
	v_fma_f16 v70, v86, s21, -v154
	v_add_f16_e32 v23, v156, v23
	v_fma_f16 v19, v96, s18, v18
	v_add_f16_e32 v70, v22, v70
	v_fma_f16 v15, v90, s15, -v15
	v_add_f16_e32 v19, v19, v23
	v_mul_f16_e32 v23, 0x3bf1, v100
	v_add_f16_e32 v15, v15, v70
	v_fma_f16 v70, v93, s22, -v155
	v_fma_f16 v156, v99, s6, v23
	v_mul_f16_e32 v14, 0x3770, v103
	v_add_f16_e32 v15, v70, v15
	v_fma_f16 v18, v96, s18, -v18
	v_add_f16_e32 v19, v156, v19
	v_fma_f16 v156, v102, s5, v14
	v_mul_f16_e32 v12, 0x3b15, v12
	v_add_f16_e32 v15, v18, v15
	v_fma_f16 v18, v99, s6, -v23
	v_add_f16_e32 v19, v156, v19
	v_fma_f16 v156, v29, s16, v12
	v_mul_f16_e32 v31, 0x388b, v31
	v_mul_f16_e32 v87, 0xb770, v87
	v_add_f16_e32 v15, v18, v15
	v_fma_f16 v14, v102, s5, -v14
	v_fma_f16 v12, v29, s7, v12
	v_mul_f16_e32 v34, 0x2fb7, v34
	v_fma_f16 v20, v86, s5, v87
	v_mul_f16_e32 v21, 0xba95, v91
	v_add_f16_e32 v14, v14, v15
	v_add_f16_e32 v12, v79, v12
	v_fma_f16 v15, v33, s23, v31
	v_mul_f16_e32 v37, 0xb5ac, v37
	v_add_f16_e32 v20, v22, v20
	v_fma_f16 v91, v90, s21, v21
	v_add_f16_e32 v12, v15, v12
	v_fma_f16 v15, v36, s14, v34
	v_mul_f16_e32 v54, 0xb9fd, v54
	v_add_f16_e32 v20, v91, v20
	v_mul_f16_e32 v91, 0xbbf1, v94
	v_add_f16_e32 v12, v15, v12
	v_fma_f16 v15, v39, s17, v37
	v_mul_f16_e32 v83, 0xbbc4, v83
	v_fma_f16 v94, v93, s6, v91
	v_add_f16_e32 v12, v15, v12
	v_fma_f16 v15, v82, s19, v54
	v_add_f16_e32 v20, v94, v20
	v_mul_f16_e32 v94, 0xbb7b, v97
	v_add_f16_e32 v16, v77, v16
	v_add_f16_e32 v12, v15, v12
	v_fma_f16 v15, v85, s24, v83
	v_add_f16_e32 v156, v79, v156
	v_fma_f16 v157, v33, s27, v31
	v_fma_f16 v97, v96, s15, v94
	v_add_f16_e32 v16, v78, v16
	v_add_f16_e32 v12, v15, v12
	v_fma_f16 v15, v86, s5, -v87
	v_add_f16_e32 v156, v157, v156
	v_fma_f16 v157, v36, s20, v34
	v_add_f16_e32 v20, v97, v20
	v_mul_f16_e32 v97, 0xb94e, v100
	v_add_f16_e32 v16, v74, v16
	v_add_f16_e32 v15, v22, v15
	v_fma_f16 v18, v90, s21, -v21
	v_add_f16_e32 v156, v157, v156
	v_fma_f16 v157, v39, s26, v37
	v_fma_f16 v100, v99, s18, v97
	v_add_f16_e32 v16, v75, v16
	v_add_f16_e32 v15, v18, v15
	v_fma_f16 v18, v93, s6, -v91
	v_add_f16_e32 v156, v157, v156
	v_fma_f16 v157, v82, s25, v54
	v_add_f16_e32 v20, v100, v20
	v_mul_f16_e32 v100, 0xb3a8, v103
	v_add_f16_e32 v16, v73, v16
	v_add_f16_e32 v15, v18, v15
	v_fma_f16 v18, v96, s15, -v94
	v_add_f16_e32 v156, v157, v156
	v_fma_f16 v157, v85, s28, v83
	v_fma_f16 v103, v102, s22, v100
	v_add_f16_e32 v16, v71, v16
	v_add_f16_e32 v15, v18, v15
	v_fma_f16 v18, v99, s18, -v97
	v_add_f16_e32 v156, v157, v156
	v_add_f16_e32 v20, v103, v20
	;; [unrolled: 1-line block ×3, first 2 shown]
	v_add_f16_sdwa v16, v76, v16 dst_sel:DWORD dst_unused:UNUSED_PAD src0_sel:WORD_1 src1_sel:DWORD
	v_add_f16_e32 v15, v18, v15
	v_fma_f16 v18, v102, s22, -v100
	v_add_f16_e32 v15, v18, v15
	v_pack_b32_f16 v18, v20, v156
	v_pack_b32_f16 v13, v13, v16
	ds_write2_b32 v9, v13, v18 offset0:169 offset1:170
	v_pack_b32_f16 v13, v141, v134
	v_pack_b32_f16 v16, v19, v148
	ds_write2_b32 v9, v16, v13 offset0:171 offset1:172
	;; [unrolled: 3-line block ×5, first 2 shown]
	v_pack_b32_f16 v13, v14, v69
	v_pack_b32_f16 v14, v68, v67
	;; [unrolled: 1-line block ×3, first 2 shown]
	ds_write2_b32 v9, v14, v13 offset0:179 offset1:180
	ds_write_b32 v9, v12 offset:724
.LBB0_13:
	s_or_b64 exec, exec, s[0:1]
	s_waitcnt lgkmcnt(0)
	; wave barrier
	s_waitcnt lgkmcnt(0)
	ds_read2_b32 v[12:13], v40 offset1:13
	ds_read2_b32 v[14:15], v40 offset0:78 offset1:91
	ds_read2_b32 v[16:17], v40 offset0:104 offset1:117
	;; [unrolled: 1-line block ×6, first 2 shown]
	s_waitcnt lgkmcnt(5)
	v_lshrrev_b32_e32 v31, 16, v15
	v_mul_f16_sdwa v69, v55, v31 dst_sel:DWORD dst_unused:UNUSED_PAD src0_sel:WORD_1 src1_sel:DWORD
	s_waitcnt lgkmcnt(4)
	v_lshrrev_b32_e32 v33, 16, v16
	v_fma_f16 v69, v55, v15, v69
	v_mul_f16_sdwa v15, v55, v15 dst_sel:DWORD dst_unused:UNUSED_PAD src0_sel:WORD_1 src1_sel:DWORD
	v_fma_f16 v15, v55, v31, -v15
	v_mul_f16_sdwa v31, v55, v33 dst_sel:DWORD dst_unused:UNUSED_PAD src0_sel:WORD_1 src1_sel:DWORD
	v_lshrrev_b32_e32 v35, 16, v17
	v_fma_f16 v31, v55, v16, v31
	v_mul_f16_sdwa v16, v55, v16 dst_sel:DWORD dst_unused:UNUSED_PAD src0_sel:WORD_1 src1_sel:DWORD
	v_fma_f16 v16, v55, v33, -v16
	v_mul_f16_sdwa v33, v60, v35 dst_sel:DWORD dst_unused:UNUSED_PAD src0_sel:WORD_1 src1_sel:DWORD
	s_waitcnt lgkmcnt(2)
	v_lshrrev_b32_e32 v37, 16, v20
	s_waitcnt lgkmcnt(0)
	v_lshrrev_b32_e32 v68, 16, v29
	v_fma_f16 v33, v60, v17, v33
	v_mul_f16_sdwa v17, v60, v17 dst_sel:DWORD dst_unused:UNUSED_PAD src0_sel:WORD_1 src1_sel:DWORD
	v_fma_f16 v17, v60, v35, -v17
	v_mul_f16_sdwa v35, v59, v37 dst_sel:DWORD dst_unused:UNUSED_PAD src0_sel:WORD_1 src1_sel:DWORD
	v_mul_f16_sdwa v55, v56, v68 dst_sel:DWORD dst_unused:UNUSED_PAD src0_sel:WORD_1 src1_sel:DWORD
	v_lshrrev_b32_e32 v30, 16, v12
	v_lshrrev_b32_e32 v39, 16, v21
	v_fma_f16 v35, v59, v20, v35
	v_mul_f16_sdwa v20, v59, v20 dst_sel:DWORD dst_unused:UNUSED_PAD src0_sel:WORD_1 src1_sel:DWORD
	v_fma_f16 v55, v56, v29, v55
	v_mul_f16_sdwa v29, v56, v29 dst_sel:DWORD dst_unused:UNUSED_PAD src0_sel:WORD_1 src1_sel:DWORD
	v_lshrrev_b32_e32 v32, 16, v13
	v_fma_f16 v20, v59, v37, -v20
	v_mul_f16_sdwa v37, v58, v39 dst_sel:DWORD dst_unused:UNUSED_PAD src0_sel:WORD_1 src1_sel:DWORD
	v_fma_f16 v29, v56, v68, -v29
	v_sub_f16_e32 v56, v12, v69
	v_sub_f16_e32 v15, v30, v15
	v_lshrrev_b32_e32 v34, 16, v18
	v_lshrrev_b32_e32 v66, 16, v28
	v_fma_f16 v37, v58, v21, v37
	v_mul_f16_sdwa v21, v58, v21 dst_sel:DWORD dst_unused:UNUSED_PAD src0_sel:WORD_1 src1_sel:DWORD
	v_fma_f16 v12, v12, 2.0, -v56
	v_fma_f16 v30, v30, 2.0, -v15
	v_sub_f16_e32 v31, v13, v31
	v_sub_f16_e32 v16, v32, v16
	v_lshrrev_b32_e32 v36, 16, v19
	v_fma_f16 v21, v58, v39, -v21
	v_mul_f16_sdwa v39, v57, v66 dst_sel:DWORD dst_unused:UNUSED_PAD src0_sel:WORD_1 src1_sel:DWORD
	v_fma_f16 v13, v13, 2.0, -v31
	v_fma_f16 v32, v32, 2.0, -v16
	v_sub_f16_e32 v33, v18, v33
	v_sub_f16_e32 v17, v34, v17
	v_pack_b32_f16 v12, v12, v30
	v_pack_b32_f16 v15, v56, v15
	v_lshrrev_b32_e32 v38, 16, v22
	v_fma_f16 v39, v57, v28, v39
	v_mul_f16_sdwa v28, v57, v28 dst_sel:DWORD dst_unused:UNUSED_PAD src0_sel:WORD_1 src1_sel:DWORD
	v_fma_f16 v18, v18, 2.0, -v33
	v_fma_f16 v34, v34, 2.0, -v17
	v_sub_f16_e32 v35, v19, v35
	v_sub_f16_e32 v20, v36, v20
	s_waitcnt lgkmcnt(0)
	; wave barrier
	ds_write2_b32 v40, v12, v15 offset1:13
	v_pack_b32_f16 v12, v13, v32
	v_pack_b32_f16 v13, v31, v16
	v_lshrrev_b32_e32 v54, 16, v23
	v_fma_f16 v28, v57, v66, -v28
	v_fma_f16 v19, v19, 2.0, -v35
	v_fma_f16 v36, v36, 2.0, -v20
	v_sub_f16_e32 v37, v22, v37
	v_sub_f16_e32 v21, v38, v21
	ds_write2_b32 v40, v12, v13 offset0:26 offset1:39
	v_pack_b32_f16 v12, v18, v34
	v_pack_b32_f16 v13, v33, v17
	v_lshrrev_b32_e32 v67, 16, v14
	v_fma_f16 v22, v22, 2.0, -v37
	v_fma_f16 v38, v38, 2.0, -v21
	v_sub_f16_e32 v39, v23, v39
	v_sub_f16_e32 v28, v54, v28
	ds_write2_b32 v61, v12, v13 offset0:52 offset1:65
	v_pack_b32_f16 v12, v19, v36
	v_pack_b32_f16 v13, v35, v20
	v_fma_f16 v23, v23, 2.0, -v39
	v_fma_f16 v54, v54, 2.0, -v28
	v_sub_f16_e32 v55, v14, v55
	v_sub_f16_e32 v29, v67, v29
	ds_write2_b32 v62, v12, v13 offset0:78 offset1:91
	v_pack_b32_f16 v12, v22, v38
	v_pack_b32_f16 v13, v37, v21
	v_fma_f16 v14, v14, 2.0, -v55
	v_fma_f16 v57, v67, 2.0, -v29
	ds_write2_b32 v63, v12, v13 offset0:104 offset1:117
	v_pack_b32_f16 v12, v23, v54
	v_pack_b32_f16 v13, v39, v28
	ds_write2_b32 v64, v12, v13 offset0:130 offset1:143
	v_pack_b32_f16 v12, v14, v57
	v_pack_b32_f16 v13, v55, v29
	ds_write2_b32 v65, v12, v13 offset0:156 offset1:169
	s_waitcnt lgkmcnt(0)
	; wave barrier
	s_waitcnt lgkmcnt(0)
	ds_read2_b32 v[14:15], v40 offset0:26 offset1:39
	ds_read2_b32 v[16:17], v40 offset1:13
	ds_read2_b32 v[18:19], v40 offset0:52 offset1:65
	ds_read2_b32 v[20:21], v40 offset0:78 offset1:91
	;; [unrolled: 1-line block ×5, first 2 shown]
	s_waitcnt lgkmcnt(4)
	v_lshrrev_b32_e32 v32, 16, v18
	s_waitcnt lgkmcnt(3)
	v_lshrrev_b32_e32 v33, 16, v20
	v_lshrrev_b32_e32 v13, 16, v14
	v_mul_f16_sdwa v57, v0, v13 dst_sel:DWORD dst_unused:UNUSED_PAD src0_sel:WORD_1 src1_sel:DWORD
	v_fma_f16 v57, v0, v14, v57
	v_mul_f16_sdwa v14, v0, v14 dst_sel:DWORD dst_unused:UNUSED_PAD src0_sel:WORD_1 src1_sel:DWORD
	v_fma_f16 v0, v0, v13, -v14
	v_mul_f16_sdwa v13, v1, v32 dst_sel:DWORD dst_unused:UNUSED_PAD src0_sel:WORD_1 src1_sel:DWORD
	v_mul_f16_sdwa v14, v1, v18 dst_sel:DWORD dst_unused:UNUSED_PAD src0_sel:WORD_1 src1_sel:DWORD
	s_waitcnt lgkmcnt(2)
	v_lshrrev_b32_e32 v34, 16, v22
	v_fma_f16 v13, v1, v18, v13
	v_fma_f16 v1, v1, v32, -v14
	v_mul_f16_sdwa v14, v2, v33 dst_sel:DWORD dst_unused:UNUSED_PAD src0_sel:WORD_1 src1_sel:DWORD
	v_mul_f16_sdwa v18, v2, v20 dst_sel:DWORD dst_unused:UNUSED_PAD src0_sel:WORD_1 src1_sel:DWORD
	s_waitcnt lgkmcnt(1)
	v_lshrrev_b32_e32 v35, 16, v28
	v_fma_f16 v14, v2, v20, v14
	;; [unrolled: 6-line block ×3, first 2 shown]
	v_fma_f16 v3, v3, v34, -v20
	v_mul_f16_sdwa v20, v24, v35 dst_sel:DWORD dst_unused:UNUSED_PAD src0_sel:WORD_1 src1_sel:DWORD
	v_mul_f16_sdwa v22, v24, v28 dst_sel:DWORD dst_unused:UNUSED_PAD src0_sel:WORD_1 src1_sel:DWORD
	v_lshrrev_b32_e32 v37, 16, v15
	v_fma_f16 v20, v24, v28, v20
	v_fma_f16 v22, v24, v35, -v22
	v_mul_f16_sdwa v24, v25, v36 dst_sel:DWORD dst_unused:UNUSED_PAD src0_sel:WORD_1 src1_sel:DWORD
	v_mul_f16_sdwa v28, v25, v30 dst_sel:DWORD dst_unused:UNUSED_PAD src0_sel:WORD_1 src1_sel:DWORD
	v_fma_f16 v24, v25, v30, v24
	v_fma_f16 v25, v25, v36, -v28
	v_mul_f16_sdwa v28, v4, v37 dst_sel:DWORD dst_unused:UNUSED_PAD src0_sel:WORD_1 src1_sel:DWORD
	v_lshrrev_b32_e32 v38, 16, v19
	v_fma_f16 v28, v4, v15, v28
	v_mul_f16_sdwa v15, v4, v15 dst_sel:DWORD dst_unused:UNUSED_PAD src0_sel:WORD_1 src1_sel:DWORD
	v_fma_f16 v4, v4, v37, -v15
	v_mul_f16_sdwa v15, v5, v38 dst_sel:DWORD dst_unused:UNUSED_PAD src0_sel:WORD_1 src1_sel:DWORD
	v_lshrrev_b32_e32 v39, 16, v21
	v_fma_f16 v15, v5, v19, v15
	v_mul_f16_sdwa v19, v5, v19 dst_sel:DWORD dst_unused:UNUSED_PAD src0_sel:WORD_1 src1_sel:DWORD
	;; [unrolled: 5-line block ×5, first 2 shown]
	v_fma_f16 v26, v26, v55, -v29
	v_mul_f16_sdwa v29, v27, v56 dst_sel:DWORD dst_unused:UNUSED_PAD src0_sel:WORD_1 src1_sel:DWORD
	v_mul_f16_sdwa v30, v27, v31 dst_sel:DWORD dst_unused:UNUSED_PAD src0_sel:WORD_1 src1_sel:DWORD
	v_fma_f16 v29, v27, v31, v29
	v_fma_f16 v27, v27, v56, -v30
	v_add_f16_e32 v30, v57, v24
	v_add_f16_e32 v31, v0, v25
	v_sub_f16_e32 v0, v0, v25
	v_add_f16_e32 v25, v13, v20
	v_add_f16_e32 v32, v1, v22
	v_sub_f16_e32 v24, v57, v24
	v_sub_f16_e32 v13, v13, v20
	;; [unrolled: 1-line block ×3, first 2 shown]
	v_add_f16_e32 v20, v14, v18
	v_add_f16_e32 v22, v2, v3
	v_sub_f16_e32 v14, v18, v14
	v_sub_f16_e32 v2, v3, v2
	v_add_f16_e32 v3, v25, v30
	v_add_f16_e32 v18, v32, v31
	v_sub_f16_e32 v33, v25, v30
	v_sub_f16_e32 v34, v32, v31
	;; [unrolled: 1-line block ×6, first 2 shown]
	v_add_f16_e32 v35, v14, v13
	v_add_f16_e32 v36, v2, v1
	v_sub_f16_e32 v37, v14, v13
	v_sub_f16_e32 v38, v2, v1
	;; [unrolled: 1-line block ×4, first 2 shown]
	v_add_f16_e32 v3, v20, v3
	v_add_f16_e32 v18, v22, v18
	v_mov_b32_e32 v12, s2
	v_sub_f16_e32 v14, v24, v14
	v_sub_f16_e32 v2, v0, v2
	v_add_f16_e32 v20, v35, v24
	v_add_f16_e32 v0, v36, v0
	;; [unrolled: 1-line block ×3, first 2 shown]
	v_add_f16_sdwa v16, v16, v18 dst_sel:DWORD dst_unused:UNUSED_PAD src0_sel:WORD_1 src1_sel:DWORD
	v_mul_f16_e32 v24, 0x3a52, v30
	v_mul_f16_e32 v30, 0x3a52, v31
	s_movk_i32 s0, 0x2b26
	v_mul_f16_e32 v31, 0x2b26, v25
	v_mul_f16_e32 v35, 0x2b26, v32
	;; [unrolled: 1-line block ×4, first 2 shown]
	s_mov_b32 s1, 0xbb00
	v_mul_f16_e32 v38, 0xbb00, v13
	v_mul_f16_e32 v39, 0xbb00, v1
	s_mov_b32 s2, 0xbcab
	s_movk_i32 s5, 0x39e0
	s_mov_b32 s6, 0xb9e0
	s_mov_b32 s7, 0xb574
	s_movk_i32 s14, 0x3574
	v_fma_f16 v3, v3, s2, v22
	v_fma_f16 v18, v18, s2, v16
	;; [unrolled: 1-line block ×4, first 2 shown]
	v_fma_f16 v31, v33, s5, -v31
	v_fma_f16 v35, v34, s5, -v35
	;; [unrolled: 1-line block ×4, first 2 shown]
	v_fma_f16 v33, v14, s7, v36
	v_fma_f16 v34, v2, s7, v37
	v_fma_f16 v1, v1, s1, -v37
	v_fma_f16 v14, v14, s14, -v38
	;; [unrolled: 1-line block ×3, first 2 shown]
	s_mov_b32 s15, 0xb70e
	v_fma_f16 v13, v13, s1, -v36
	v_add_f16_e32 v25, v25, v3
	v_add_f16_e32 v32, v32, v18
	;; [unrolled: 1-line block ×6, first 2 shown]
	v_fma_f16 v24, v20, s15, v33
	v_fma_f16 v30, v0, s15, v34
	;; [unrolled: 1-line block ×6, first 2 shown]
	v_add_f16_e32 v2, v30, v25
	v_sub_f16_e32 v20, v32, v24
	v_add_f16_e32 v33, v0, v3
	v_sub_f16_e32 v34, v18, v14
	v_sub_f16_e32 v0, v3, v0
	v_add_f16_e32 v3, v14, v18
	v_sub_f16_e32 v14, v25, v30
	v_add_f16_e32 v18, v24, v32
	v_add_f16_e32 v24, v28, v29
	;; [unrolled: 1-line block ×3, first 2 shown]
	v_sub_f16_e32 v28, v28, v29
	v_sub_f16_e32 v4, v4, v27
	v_add_f16_e32 v27, v15, v23
	v_add_f16_e32 v29, v5, v26
	v_sub_f16_e32 v15, v15, v23
	v_sub_f16_e32 v5, v5, v26
	v_add_f16_e32 v23, v19, v21
	v_add_f16_e32 v26, v6, v7
	;; [unrolled: 4-line block ×3, first 2 shown]
	v_sub_f16_e32 v36, v31, v1
	v_add_f16_e32 v37, v13, v35
	v_add_f16_e32 v1, v1, v31
	v_sub_f16_e32 v13, v35, v13
	v_sub_f16_e32 v30, v27, v24
	;; [unrolled: 1-line block ×7, first 2 shown]
	v_add_f16_e32 v32, v19, v15
	v_add_f16_e32 v35, v6, v5
	v_sub_f16_e32 v38, v19, v15
	v_sub_f16_e32 v39, v6, v5
	;; [unrolled: 1-line block ×4, first 2 shown]
	v_add_f16_e32 v7, v23, v7
	v_add_f16_e32 v21, v26, v21
	v_sub_f16_e32 v19, v28, v19
	v_sub_f16_e32 v6, v4, v6
	v_add_f16_e32 v23, v32, v28
	v_add_f16_e32 v4, v35, v4
	;; [unrolled: 1-line block ×3, first 2 shown]
	v_add_f16_sdwa v17, v17, v21 dst_sel:DWORD dst_unused:UNUSED_PAD src0_sel:WORD_1 src1_sel:DWORD
	v_mul_f16_e32 v24, 0x3a52, v24
	v_mul_f16_e32 v25, 0x3a52, v25
	v_mul_f16_e32 v28, 0x2b26, v27
	v_mul_f16_e32 v32, 0x2b26, v29
	v_mul_f16_e32 v35, 0x3846, v38
	v_mul_f16_e32 v38, 0x3846, v39
	v_mul_f16_e32 v39, 0xbb00, v15
	v_mul_f16_e32 v54, 0xbb00, v5
	v_pack_b32_f16 v2, v2, v20
	v_pack_b32_f16 v20, v33, v34
	v_fma_f16 v7, v7, s2, v26
	v_fma_f16 v21, v21, s2, v17
	;; [unrolled: 1-line block ×4, first 2 shown]
	v_fma_f16 v28, v30, s5, -v28
	v_fma_f16 v32, v31, s5, -v32
	;; [unrolled: 1-line block ×4, first 2 shown]
	v_fma_f16 v30, v19, s7, v35
	v_fma_f16 v31, v6, s7, v38
	v_fma_f16 v5, v5, s1, -v38
	v_fma_f16 v19, v19, s14, -v39
	;; [unrolled: 1-line block ×3, first 2 shown]
	ds_write2_b32 v40, v2, v20 offset0:26 offset1:52
	v_pack_b32_f16 v2, v36, v37
	v_pack_b32_f16 v1, v1, v13
	v_fma_f16 v15, v15, s1, -v35
	v_add_f16_e32 v27, v27, v7
	v_add_f16_e32 v29, v29, v21
	;; [unrolled: 1-line block ×6, first 2 shown]
	v_fma_f16 v24, v23, s15, v30
	v_fma_f16 v25, v4, s15, v31
	;; [unrolled: 1-line block ×5, first 2 shown]
	ds_write2_b32 v40, v2, v1 offset0:78 offset1:104
	v_pack_b32_f16 v0, v0, v3
	v_pack_b32_f16 v1, v14, v18
	v_fma_f16 v15, v23, s15, v15
	v_add_f16_e32 v6, v25, v27
	v_sub_f16_e32 v23, v29, v24
	v_add_f16_e32 v30, v4, v7
	v_sub_f16_e32 v31, v21, v19
	v_pack_b32_f16 v16, v22, v16
	ds_write2_b32 v40, v0, v1 offset0:130 offset1:156
	v_pack_b32_f16 v0, v26, v17
	v_sub_f16_e32 v35, v28, v5
	v_add_f16_e32 v38, v15, v32
	v_add_f16_e32 v5, v5, v28
	v_sub_f16_e32 v15, v32, v15
	ds_write2_b32 v40, v16, v0 offset1:13
	v_pack_b32_f16 v0, v6, v23
	v_pack_b32_f16 v1, v30, v31
	v_sub_f16_e32 v4, v7, v4
	v_add_f16_e32 v7, v19, v21
	v_sub_f16_e32 v19, v27, v25
	v_add_f16_e32 v21, v24, v29
	ds_write2_b32 v80, v0, v1 offset0:26 offset1:52
	v_pack_b32_f16 v0, v35, v38
	v_pack_b32_f16 v1, v5, v15
	ds_write2_b32 v80, v0, v1 offset0:78 offset1:104
	v_pack_b32_f16 v0, v4, v7
	v_pack_b32_f16 v1, v19, v21
	ds_write2_b32 v80, v0, v1 offset0:130 offset1:156
	s_waitcnt lgkmcnt(0)
	; wave barrier
	s_waitcnt lgkmcnt(0)
	ds_read2_b32 v[4:5], v40 offset1:14
	v_mad_u64_u32 v[0:1], s[0:1], s10, v10, 0
	v_mov_b32_e32 v2, v1
	v_mad_u64_u32 v[2:3], s[0:1], s11, v10, v[2:3]
	s_waitcnt lgkmcnt(0)
	v_lshrrev_b32_e32 v6, 16, v4
	v_mul_f16_sdwa v1, v53, v6 dst_sel:DWORD dst_unused:UNUSED_PAD src0_sel:WORD_1 src1_sel:DWORD
	v_fma_f16 v1, v53, v4, v1
	v_cvt_f32_f16_e32 v7, v1
	s_mov_b32 s6, 0x16816817
	v_mov_b32_e32 v1, v2
	s_mov_b32 s7, 0x3f768168
	v_cvt_f64_f32_e32 v[2:3], v7
	v_mul_f64 v[2:3], v[2:3], s[6:7]
	s_movk_i32 s15, 0x1ff
	v_and_or_b32 v2, v3, s15, v2
	v_cmp_ne_u32_e64 s[0:1], 0, v2
	v_lshrrev_b32_e32 v7, 8, v3
	s_movk_i32 s14, 0xffe
	v_cndmask_b32_e64 v2, 0, 1, s[0:1]
	v_bfe_u32 v10, v3, 20, 11
	v_and_or_b32 v7, v7, s14, v2
	v_sub_u32_e32 v14, 0x3f1, v10
	v_or_b32_e32 v2, 0x1000, v7
	v_med3_i32 v14, v14, 0, 13
	v_lshrrev_b32_e32 v15, v14, v2
	v_lshlrev_b32_e32 v14, v14, v15
	v_cmp_ne_u32_e64 s[0:1], v14, v2
	v_add_u32_e32 v10, 0xfffffc10, v10
	v_lshl_or_b32 v14, v10, 12, v7
	v_cndmask_b32_e64 v2, 0, 1, s[0:1]
	v_or_b32_e32 v2, v15, v2
	v_cmp_gt_i32_e64 s[0:1], 1, v10
	v_mov_b32_e32 v13, s3
	v_mul_f16_sdwa v4, v53, v4 dst_sel:DWORD dst_unused:UNUSED_PAD src0_sel:WORD_1 src1_sel:DWORD
	v_cndmask_b32_e64 v2, v14, v2, s[0:1]
	v_and_b32_e32 v14, 7, v2
	v_cmp_lt_i32_e64 s[0:1], 5, v14
	v_cmp_eq_u32_e64 s[2:3], 3, v14
	v_lshrrev_b32_e32 v2, 2, v2
	s_or_b64 s[0:1], s[2:3], s[0:1]
	v_addc_co_u32_e64 v14, s[0:1], 0, v2, s[0:1]
	v_fma_f16 v4, v53, v6, -v4
	v_mov_b32_e32 v2, 0x7c00
	v_cmp_gt_i32_e64 s[0:1], 31, v10
	v_cvt_f32_f16_e32 v4, v4
	s_movk_i32 s10, 0x40f
	v_cndmask_b32_e64 v14, v2, v14, s[0:1]
	v_cmp_ne_u32_e64 s[0:1], 0, v7
	s_mov_b32 s11, 0x8000
	v_and_b32_sdwa v3, v3, s11 dst_sel:DWORD dst_unused:UNUSED_PAD src0_sel:WORD_1 src1_sel:DWORD
	v_cndmask_b32_e64 v7, 0, 1, s[0:1]
	v_lshl_or_b32 v7, v7, 9, v2
	v_cmp_eq_u32_e64 s[0:1], s10, v10
	v_lshl_add_u64 v[0:1], v[0:1], 2, v[12:13]
	s_mul_i32 s5, s9, 56
	v_cndmask_b32_e64 v10, v14, v7, s[0:1]
	v_cvt_f64_f32_e32 v[6:7], v4
	v_mul_f64 v[6:7], v[6:7], s[6:7]
	v_and_or_b32 v4, v7, s15, v6
	v_cmp_ne_u32_e64 s[0:1], 0, v4
	v_lshrrev_b32_e32 v6, 8, v7
	v_bfe_u32 v14, v7, 20, 11
	v_cndmask_b32_e64 v4, 0, 1, s[0:1]
	v_and_or_b32 v4, v6, s14, v4
	v_sub_u32_e32 v15, 0x3f1, v14
	v_or_b32_e32 v6, 0x1000, v4
	v_med3_i32 v15, v15, 0, 13
	v_lshrrev_b32_e32 v16, v15, v6
	v_lshlrev_b32_e32 v15, v15, v16
	v_cmp_ne_u32_e64 s[0:1], v15, v6
	v_add_u32_e32 v14, 0xfffffc10, v14
	v_lshl_or_b32 v15, v14, 12, v4
	v_cndmask_b32_e64 v6, 0, 1, s[0:1]
	v_or_b32_e32 v6, v16, v6
	v_cmp_gt_i32_e64 s[0:1], 1, v14
	v_bitop3_b32 v3, v3, s4, v10 bitop3:0xc8
	s_nop 0
	v_cndmask_b32_e64 v6, v15, v6, s[0:1]
	v_and_b32_e32 v15, 7, v6
	v_cmp_lt_i32_e64 s[0:1], 5, v15
	v_cmp_eq_u32_e64 s[2:3], 3, v15
	v_lshrrev_b32_e32 v6, 2, v6
	s_or_b64 s[0:1], s[2:3], s[0:1]
	v_addc_co_u32_e64 v6, s[0:1], 0, v6, s[0:1]
	v_cmp_gt_i32_e64 s[0:1], 31, v14
	s_nop 1
	v_cndmask_b32_e64 v6, v2, v6, s[0:1]
	v_cmp_ne_u32_e64 s[0:1], 0, v4
	s_nop 1
	v_cndmask_b32_e64 v4, 0, 1, s[0:1]
	v_lshl_or_b32 v4, v4, 9, v2
	v_cmp_eq_u32_e64 s[0:1], s10, v14
	s_nop 1
	v_cndmask_b32_e64 v4, v6, v4, s[0:1]
	v_lshrrev_b32_e32 v6, 16, v7
	v_and_or_b32 v16, v6, s11, v4
	v_mad_u64_u32 v[6:7], s[0:1], s8, v8, 0
	v_mov_b32_e32 v4, v7
	v_mad_u64_u32 v[14:15], s[0:1], s9, v8, v[4:5]
	v_lshrrev_b32_e32 v4, 16, v5
	v_mul_f16_sdwa v8, v52, v4 dst_sel:DWORD dst_unused:UNUSED_PAD src0_sel:WORD_1 src1_sel:DWORD
	v_fma_f16 v8, v52, v5, v8
	v_cvt_f32_f16_e32 v8, v8
	v_mov_b32_e32 v7, v14
	v_lshl_or_b32 v3, v16, 16, v3
	v_lshl_add_u64 v[6:7], v[6:7], 2, v[0:1]
	v_cvt_f64_f32_e32 v[12:13], v8
	v_mul_f64 v[12:13], v[12:13], s[6:7]
	global_store_dword v[6:7], v3, off
	v_and_or_b32 v3, v13, s15, v12
	v_cmp_ne_u32_e64 s[0:1], 0, v3
	v_lshrrev_b32_e32 v8, 8, v13
	v_bfe_u32 v10, v13, 20, 11
	v_cndmask_b32_e64 v3, 0, 1, s[0:1]
	v_and_or_b32 v3, v8, s14, v3
	v_sub_u32_e32 v12, 0x3f1, v10
	v_or_b32_e32 v8, 0x1000, v3
	v_med3_i32 v12, v12, 0, 13
	v_lshrrev_b32_e32 v14, v12, v8
	v_lshlrev_b32_e32 v12, v12, v14
	v_cmp_ne_u32_e64 s[0:1], v12, v8
	v_add_u32_e32 v10, 0xfffffc10, v10
	v_lshl_or_b32 v12, v10, 12, v3
	v_cndmask_b32_e64 v8, 0, 1, s[0:1]
	v_or_b32_e32 v8, v14, v8
	v_cmp_gt_i32_e64 s[0:1], 1, v10
	v_mul_f16_sdwa v5, v52, v5 dst_sel:DWORD dst_unused:UNUSED_PAD src0_sel:WORD_1 src1_sel:DWORD
	v_fma_f16 v4, v52, v4, -v5
	v_cndmask_b32_e64 v8, v12, v8, s[0:1]
	v_and_b32_e32 v12, 7, v8
	v_cmp_lt_i32_e64 s[0:1], 5, v12
	v_cmp_eq_u32_e64 s[2:3], 3, v12
	v_cvt_f32_f16_e32 v4, v4
	v_lshrrev_b32_e32 v8, 2, v8
	s_or_b64 s[0:1], s[2:3], s[0:1]
	v_addc_co_u32_e64 v8, s[0:1], 0, v8, s[0:1]
	v_cmp_gt_i32_e64 s[0:1], 31, v10
	v_cvt_f64_f32_e32 v[4:5], v4
	v_mul_f64 v[4:5], v[4:5], s[6:7]
	v_cndmask_b32_e64 v8, v2, v8, s[0:1]
	v_cmp_ne_u32_e64 s[0:1], 0, v3
	v_and_or_b32 v4, v5, s15, v4
	v_bfe_u32 v12, v5, 20, 11
	v_cndmask_b32_e64 v3, 0, 1, s[0:1]
	v_lshl_or_b32 v3, v3, 9, v2
	v_cmp_eq_u32_e64 s[0:1], s10, v10
	v_lshrrev_b32_e32 v10, 8, v5
	v_lshrrev_b32_e32 v5, 16, v5
	v_cndmask_b32_e64 v3, v8, v3, s[0:1]
	v_cmp_ne_u32_e64 s[0:1], 0, v4
	v_and_b32_sdwa v8, v13, s11 dst_sel:DWORD dst_unused:UNUSED_PAD src0_sel:WORD_1 src1_sel:DWORD
	v_sub_u32_e32 v13, 0x3f1, v12
	v_cndmask_b32_e64 v4, 0, 1, s[0:1]
	v_and_or_b32 v4, v10, s14, v4
	v_or_b32_e32 v10, 0x1000, v4
	v_med3_i32 v13, v13, 0, 13
	v_lshrrev_b32_e32 v14, v13, v10
	v_lshlrev_b32_e32 v13, v13, v14
	v_cmp_ne_u32_e64 s[0:1], v13, v10
	v_add_u32_e32 v12, 0xfffffc10, v12
	v_lshl_or_b32 v13, v12, 12, v4
	v_cndmask_b32_e64 v10, 0, 1, s[0:1]
	v_or_b32_e32 v10, v14, v10
	v_cmp_gt_i32_e64 s[0:1], 1, v12
	v_bitop3_b32 v3, v8, s4, v3 bitop3:0xc8
	s_nop 0
	v_cndmask_b32_e64 v10, v13, v10, s[0:1]
	v_and_b32_e32 v13, 7, v10
	v_cmp_lt_i32_e64 s[0:1], 5, v13
	v_cmp_eq_u32_e64 s[2:3], 3, v13
	v_lshrrev_b32_e32 v10, 2, v10
	s_or_b64 s[0:1], s[2:3], s[0:1]
	v_addc_co_u32_e64 v10, s[0:1], 0, v10, s[0:1]
	v_cmp_gt_i32_e64 s[0:1], 31, v12
	s_nop 1
	v_cndmask_b32_e64 v10, v2, v10, s[0:1]
	v_cmp_ne_u32_e64 s[0:1], 0, v4
	s_nop 1
	v_cndmask_b32_e64 v4, 0, 1, s[0:1]
	v_lshl_or_b32 v4, v4, 9, v2
	v_cmp_eq_u32_e64 s[0:1], s10, v12
	s_nop 1
	v_cndmask_b32_e64 v4, v10, v4, s[0:1]
	v_and_or_b32 v10, v5, s11, v4
	ds_read2_b32 v[4:5], v40 offset0:28 offset1:42
	v_lshl_or_b32 v3, v10, 16, v3
	v_mad_u64_u32 v[6:7], s[0:1], s8, 56, v[6:7]
	v_add_u32_e32 v7, s5, v7
	s_waitcnt lgkmcnt(0)
	v_lshrrev_b32_e32 v8, 16, v4
	v_mul_f16_sdwa v10, v51, v8 dst_sel:DWORD dst_unused:UNUSED_PAD src0_sel:WORD_1 src1_sel:DWORD
	v_fma_f16 v10, v51, v4, v10
	v_cvt_f32_f16_e32 v10, v10
	global_store_dword v[6:7], v3, off
	v_mul_f16_sdwa v4, v51, v4 dst_sel:DWORD dst_unused:UNUSED_PAD src0_sel:WORD_1 src1_sel:DWORD
	v_fma_f16 v4, v51, v8, -v4
	v_cvt_f64_f32_e32 v[12:13], v10
	v_mul_f64 v[12:13], v[12:13], s[6:7]
	v_and_or_b32 v3, v13, s15, v12
	v_cmp_ne_u32_e64 s[0:1], 0, v3
	v_lshrrev_b32_e32 v10, 8, v13
	v_bfe_u32 v12, v13, 20, 11
	v_cndmask_b32_e64 v3, 0, 1, s[0:1]
	v_and_or_b32 v3, v10, s14, v3
	v_sub_u32_e32 v14, 0x3f1, v12
	v_or_b32_e32 v10, 0x1000, v3
	v_med3_i32 v14, v14, 0, 13
	v_lshrrev_b32_e32 v15, v14, v10
	v_lshlrev_b32_e32 v14, v14, v15
	v_cmp_ne_u32_e64 s[0:1], v14, v10
	v_add_u32_e32 v12, 0xfffffc10, v12
	v_lshl_or_b32 v14, v12, 12, v3
	v_cndmask_b32_e64 v10, 0, 1, s[0:1]
	v_or_b32_e32 v10, v15, v10
	v_cmp_gt_i32_e64 s[0:1], 1, v12
	v_cvt_f32_f16_e32 v4, v4
	v_and_b32_sdwa v8, v13, s11 dst_sel:DWORD dst_unused:UNUSED_PAD src0_sel:WORD_1 src1_sel:DWORD
	v_cndmask_b32_e64 v10, v14, v10, s[0:1]
	v_and_b32_e32 v14, 7, v10
	v_cmp_lt_i32_e64 s[0:1], 5, v14
	v_cmp_eq_u32_e64 s[2:3], 3, v14
	v_lshrrev_b32_e32 v10, 2, v10
	s_or_b64 s[0:1], s[2:3], s[0:1]
	v_addc_co_u32_e64 v10, s[0:1], 0, v10, s[0:1]
	v_cmp_gt_i32_e64 s[0:1], 31, v12
	s_nop 1
	v_cndmask_b32_e64 v10, v2, v10, s[0:1]
	v_cmp_ne_u32_e64 s[0:1], 0, v3
	s_nop 1
	v_cndmask_b32_e64 v3, 0, 1, s[0:1]
	v_cmp_eq_u32_e64 s[0:1], s10, v12
	v_cvt_f64_f32_e32 v[12:13], v4
	v_mul_f64 v[12:13], v[12:13], s[6:7]
	v_lshl_or_b32 v3, v3, 9, v2
	v_and_or_b32 v4, v13, s15, v12
	v_cndmask_b32_e64 v3, v10, v3, s[0:1]
	v_cmp_ne_u32_e64 s[0:1], 0, v4
	v_lshrrev_b32_e32 v10, 8, v13
	v_bfe_u32 v12, v13, 20, 11
	v_cndmask_b32_e64 v4, 0, 1, s[0:1]
	v_and_or_b32 v4, v10, s14, v4
	v_sub_u32_e32 v14, 0x3f1, v12
	v_or_b32_e32 v10, 0x1000, v4
	v_med3_i32 v14, v14, 0, 13
	v_lshrrev_b32_e32 v15, v14, v10
	v_lshlrev_b32_e32 v14, v14, v15
	v_cmp_ne_u32_e64 s[0:1], v14, v10
	v_add_u32_e32 v12, 0xfffffc10, v12
	v_lshl_or_b32 v14, v12, 12, v4
	v_cndmask_b32_e64 v10, 0, 1, s[0:1]
	v_or_b32_e32 v10, v15, v10
	v_cmp_gt_i32_e64 s[0:1], 1, v12
	v_bitop3_b32 v3, v8, s4, v3 bitop3:0xc8
	s_nop 0
	v_cndmask_b32_e64 v10, v14, v10, s[0:1]
	v_and_b32_e32 v14, 7, v10
	v_cmp_lt_i32_e64 s[0:1], 5, v14
	v_cmp_eq_u32_e64 s[2:3], 3, v14
	v_lshrrev_b32_e32 v10, 2, v10
	s_or_b64 s[0:1], s[2:3], s[0:1]
	v_addc_co_u32_e64 v10, s[0:1], 0, v10, s[0:1]
	v_cmp_gt_i32_e64 s[0:1], 31, v12
	s_nop 1
	v_cndmask_b32_e64 v10, v2, v10, s[0:1]
	v_cmp_ne_u32_e64 s[0:1], 0, v4
	s_nop 1
	v_cndmask_b32_e64 v4, 0, 1, s[0:1]
	v_lshl_or_b32 v4, v4, 9, v2
	v_cmp_eq_u32_e64 s[0:1], s10, v12
	s_nop 1
	v_cndmask_b32_e64 v4, v10, v4, s[0:1]
	v_lshrrev_b32_e32 v10, 16, v13
	v_and_or_b32 v4, v10, s11, v4
	v_lshl_or_b32 v3, v4, 16, v3
	v_lshrrev_b32_e32 v4, 16, v5
	v_mul_f16_sdwa v8, v50, v4 dst_sel:DWORD dst_unused:UNUSED_PAD src0_sel:WORD_1 src1_sel:DWORD
	v_fma_f16 v8, v50, v5, v8
	v_cvt_f32_f16_e32 v8, v8
	v_mad_u64_u32 v[6:7], s[0:1], s8, 56, v[6:7]
	v_add_u32_e32 v7, s5, v7
	v_cvt_f64_f32_e32 v[12:13], v8
	v_mul_f64 v[12:13], v[12:13], s[6:7]
	global_store_dword v[6:7], v3, off
	v_and_or_b32 v3, v13, s15, v12
	v_cmp_ne_u32_e64 s[0:1], 0, v3
	v_lshrrev_b32_e32 v8, 8, v13
	v_bfe_u32 v10, v13, 20, 11
	v_cndmask_b32_e64 v3, 0, 1, s[0:1]
	v_and_or_b32 v3, v8, s14, v3
	v_sub_u32_e32 v12, 0x3f1, v10
	v_or_b32_e32 v8, 0x1000, v3
	v_med3_i32 v12, v12, 0, 13
	v_lshrrev_b32_e32 v14, v12, v8
	v_lshlrev_b32_e32 v12, v12, v14
	v_cmp_ne_u32_e64 s[0:1], v12, v8
	v_add_u32_e32 v10, 0xfffffc10, v10
	v_lshl_or_b32 v12, v10, 12, v3
	v_cndmask_b32_e64 v8, 0, 1, s[0:1]
	v_or_b32_e32 v8, v14, v8
	v_cmp_gt_i32_e64 s[0:1], 1, v10
	v_mul_f16_sdwa v5, v50, v5 dst_sel:DWORD dst_unused:UNUSED_PAD src0_sel:WORD_1 src1_sel:DWORD
	v_fma_f16 v4, v50, v4, -v5
	v_cndmask_b32_e64 v8, v12, v8, s[0:1]
	v_and_b32_e32 v12, 7, v8
	v_cmp_lt_i32_e64 s[0:1], 5, v12
	v_cmp_eq_u32_e64 s[2:3], 3, v12
	v_cvt_f32_f16_e32 v4, v4
	v_lshrrev_b32_e32 v8, 2, v8
	s_or_b64 s[0:1], s[2:3], s[0:1]
	v_addc_co_u32_e64 v8, s[0:1], 0, v8, s[0:1]
	v_cmp_gt_i32_e64 s[0:1], 31, v10
	v_cvt_f64_f32_e32 v[4:5], v4
	v_mul_f64 v[4:5], v[4:5], s[6:7]
	v_cndmask_b32_e64 v8, v2, v8, s[0:1]
	v_cmp_ne_u32_e64 s[0:1], 0, v3
	v_and_or_b32 v4, v5, s15, v4
	v_bfe_u32 v12, v5, 20, 11
	v_cndmask_b32_e64 v3, 0, 1, s[0:1]
	v_lshl_or_b32 v3, v3, 9, v2
	v_cmp_eq_u32_e64 s[0:1], s10, v10
	v_lshrrev_b32_e32 v10, 8, v5
	v_lshrrev_b32_e32 v5, 16, v5
	v_cndmask_b32_e64 v3, v8, v3, s[0:1]
	v_cmp_ne_u32_e64 s[0:1], 0, v4
	v_and_b32_sdwa v8, v13, s11 dst_sel:DWORD dst_unused:UNUSED_PAD src0_sel:WORD_1 src1_sel:DWORD
	v_sub_u32_e32 v13, 0x3f1, v12
	v_cndmask_b32_e64 v4, 0, 1, s[0:1]
	v_and_or_b32 v4, v10, s14, v4
	v_or_b32_e32 v10, 0x1000, v4
	v_med3_i32 v13, v13, 0, 13
	v_lshrrev_b32_e32 v14, v13, v10
	v_lshlrev_b32_e32 v13, v13, v14
	v_cmp_ne_u32_e64 s[0:1], v13, v10
	v_add_u32_e32 v12, 0xfffffc10, v12
	v_lshl_or_b32 v13, v12, 12, v4
	v_cndmask_b32_e64 v10, 0, 1, s[0:1]
	v_or_b32_e32 v10, v14, v10
	v_cmp_gt_i32_e64 s[0:1], 1, v12
	v_bitop3_b32 v3, v8, s4, v3 bitop3:0xc8
	s_nop 0
	v_cndmask_b32_e64 v10, v13, v10, s[0:1]
	v_and_b32_e32 v13, 7, v10
	v_cmp_lt_i32_e64 s[0:1], 5, v13
	v_cmp_eq_u32_e64 s[2:3], 3, v13
	v_lshrrev_b32_e32 v10, 2, v10
	s_or_b64 s[0:1], s[2:3], s[0:1]
	v_addc_co_u32_e64 v10, s[0:1], 0, v10, s[0:1]
	v_cmp_gt_i32_e64 s[0:1], 31, v12
	s_nop 1
	v_cndmask_b32_e64 v10, v2, v10, s[0:1]
	v_cmp_ne_u32_e64 s[0:1], 0, v4
	s_nop 1
	v_cndmask_b32_e64 v4, 0, 1, s[0:1]
	v_cmp_eq_u32_e64 s[0:1], s10, v12
	ds_read2_b32 v[12:13], v40 offset0:56 offset1:70
	v_lshl_or_b32 v4, v4, 9, v2
	v_cndmask_b32_e64 v4, v10, v4, s[0:1]
	v_and_or_b32 v4, v5, s11, v4
	v_lshl_or_b32 v3, v4, 16, v3
	s_waitcnt lgkmcnt(0)
	v_lshrrev_b32_e32 v8, 16, v12
	v_mul_f16_sdwa v4, v49, v8 dst_sel:DWORD dst_unused:UNUSED_PAD src0_sel:WORD_1 src1_sel:DWORD
	v_fma_f16 v4, v49, v12, v4
	v_cvt_f32_f16_e32 v10, v4
	v_mad_u64_u32 v[4:5], s[0:1], s8, 56, v[6:7]
	v_add_u32_e32 v5, s5, v5
	v_cvt_f64_f32_e32 v[6:7], v10
	v_mul_f64 v[6:7], v[6:7], s[6:7]
	global_store_dword v[4:5], v3, off
	v_and_or_b32 v3, v7, s15, v6
	v_cmp_ne_u32_e64 s[0:1], 0, v3
	v_lshrrev_b32_e32 v6, 8, v7
	v_bfe_u32 v10, v7, 20, 11
	v_cndmask_b32_e64 v3, 0, 1, s[0:1]
	v_and_or_b32 v3, v6, s14, v3
	v_sub_u32_e32 v14, 0x3f1, v10
	v_or_b32_e32 v6, 0x1000, v3
	v_med3_i32 v14, v14, 0, 13
	v_lshrrev_b32_e32 v15, v14, v6
	v_lshlrev_b32_e32 v14, v14, v15
	v_cmp_ne_u32_e64 s[0:1], v14, v6
	v_add_u32_e32 v10, 0xfffffc10, v10
	v_lshl_or_b32 v14, v10, 12, v3
	v_cndmask_b32_e64 v6, 0, 1, s[0:1]
	v_or_b32_e32 v6, v15, v6
	v_cmp_gt_i32_e64 s[0:1], 1, v10
	v_mul_f16_sdwa v12, v49, v12 dst_sel:DWORD dst_unused:UNUSED_PAD src0_sel:WORD_1 src1_sel:DWORD
	v_fma_f16 v8, v49, v8, -v12
	v_cndmask_b32_e64 v6, v14, v6, s[0:1]
	v_and_b32_e32 v14, 7, v6
	v_cmp_lt_i32_e64 s[0:1], 5, v14
	v_cmp_eq_u32_e64 s[2:3], 3, v14
	v_lshrrev_b32_e32 v6, 2, v6
	s_or_b64 s[0:1], s[2:3], s[0:1]
	v_addc_co_u32_e64 v6, s[0:1], 0, v6, s[0:1]
	v_cmp_gt_i32_e64 s[0:1], 31, v10
	v_cvt_f32_f16_e32 v8, v8
	s_nop 0
	v_cndmask_b32_e64 v6, v2, v6, s[0:1]
	v_cmp_ne_u32_e64 s[0:1], 0, v3
	s_nop 1
	v_cndmask_b32_e64 v3, 0, 1, s[0:1]
	v_lshl_or_b32 v3, v3, 9, v2
	v_cmp_eq_u32_e64 s[0:1], s10, v10
	v_and_b32_sdwa v10, v7, s11 dst_sel:DWORD dst_unused:UNUSED_PAD src0_sel:WORD_1 src1_sel:DWORD
	s_nop 0
	v_cndmask_b32_e64 v3, v6, v3, s[0:1]
	v_cvt_f64_f32_e32 v[6:7], v8
	v_mul_f64 v[6:7], v[6:7], s[6:7]
	v_and_or_b32 v6, v7, s15, v6
	v_cmp_ne_u32_e64 s[0:1], 0, v6
	v_lshrrev_b32_e32 v8, 8, v7
	v_bfe_u32 v12, v7, 20, 11
	v_cndmask_b32_e64 v6, 0, 1, s[0:1]
	v_and_or_b32 v6, v8, s14, v6
	v_sub_u32_e32 v14, 0x3f1, v12
	v_or_b32_e32 v8, 0x1000, v6
	v_med3_i32 v14, v14, 0, 13
	v_lshrrev_b32_e32 v15, v14, v8
	v_lshlrev_b32_e32 v14, v14, v15
	v_cmp_ne_u32_e64 s[0:1], v14, v8
	v_add_u32_e32 v12, 0xfffffc10, v12
	v_lshl_or_b32 v14, v12, 12, v6
	v_cndmask_b32_e64 v8, 0, 1, s[0:1]
	v_or_b32_e32 v8, v15, v8
	v_cmp_gt_i32_e64 s[0:1], 1, v12
	v_lshrrev_b32_e32 v7, 16, v7
	v_bitop3_b32 v3, v10, s4, v3 bitop3:0xc8
	v_cndmask_b32_e64 v8, v14, v8, s[0:1]
	v_and_b32_e32 v14, 7, v8
	v_cmp_lt_i32_e64 s[0:1], 5, v14
	v_cmp_eq_u32_e64 s[2:3], 3, v14
	v_lshrrev_b32_e32 v8, 2, v8
	s_or_b64 s[0:1], s[2:3], s[0:1]
	v_addc_co_u32_e64 v8, s[0:1], 0, v8, s[0:1]
	v_cmp_gt_i32_e64 s[0:1], 31, v12
	s_nop 1
	v_cndmask_b32_e64 v8, v2, v8, s[0:1]
	v_cmp_ne_u32_e64 s[0:1], 0, v6
	s_nop 1
	v_cndmask_b32_e64 v6, 0, 1, s[0:1]
	v_lshl_or_b32 v6, v6, 9, v2
	v_cmp_eq_u32_e64 s[0:1], s10, v12
	s_nop 1
	v_cndmask_b32_e64 v6, v8, v6, s[0:1]
	v_and_or_b32 v6, v7, s11, v6
	v_lshrrev_b32_e32 v8, 16, v13
	v_lshl_or_b32 v3, v6, 16, v3
	v_mul_f16_sdwa v6, v48, v8 dst_sel:DWORD dst_unused:UNUSED_PAD src0_sel:WORD_1 src1_sel:DWORD
	v_fma_f16 v6, v48, v13, v6
	v_cvt_f32_f16_e32 v6, v6
	v_mad_u64_u32 v[4:5], s[0:1], s8, 56, v[4:5]
	v_add_u32_e32 v5, s5, v5
	v_cvt_f64_f32_e32 v[6:7], v6
	v_mul_f64 v[6:7], v[6:7], s[6:7]
	global_store_dword v[4:5], v3, off
	v_and_or_b32 v3, v7, s15, v6
	v_cmp_ne_u32_e64 s[0:1], 0, v3
	v_lshrrev_b32_e32 v6, 8, v7
	v_bfe_u32 v10, v7, 20, 11
	v_cndmask_b32_e64 v3, 0, 1, s[0:1]
	v_and_or_b32 v3, v6, s14, v3
	v_sub_u32_e32 v12, 0x3f1, v10
	v_or_b32_e32 v6, 0x1000, v3
	v_med3_i32 v12, v12, 0, 13
	v_lshrrev_b32_e32 v14, v12, v6
	v_lshlrev_b32_e32 v12, v12, v14
	v_cmp_ne_u32_e64 s[0:1], v12, v6
	v_add_u32_e32 v10, 0xfffffc10, v10
	v_lshl_or_b32 v12, v10, 12, v3
	v_cndmask_b32_e64 v6, 0, 1, s[0:1]
	v_or_b32_e32 v6, v14, v6
	v_cmp_gt_i32_e64 s[0:1], 1, v10
	s_nop 1
	v_cndmask_b32_e64 v6, v12, v6, s[0:1]
	v_and_b32_e32 v12, 7, v6
	v_cmp_lt_i32_e64 s[0:1], 5, v12
	v_cmp_eq_u32_e64 s[2:3], 3, v12
	v_lshrrev_b32_e32 v6, 2, v6
	s_or_b64 s[0:1], s[2:3], s[0:1]
	v_mul_f16_sdwa v12, v48, v13 dst_sel:DWORD dst_unused:UNUSED_PAD src0_sel:WORD_1 src1_sel:DWORD
	v_addc_co_u32_e64 v6, s[0:1], 0, v6, s[0:1]
	v_fma_f16 v8, v48, v8, -v12
	v_cmp_gt_i32_e64 s[0:1], 31, v10
	v_cvt_f32_f16_e32 v8, v8
	s_nop 0
	v_cndmask_b32_e64 v6, v2, v6, s[0:1]
	v_cmp_ne_u32_e64 s[0:1], 0, v3
	s_nop 1
	v_cndmask_b32_e64 v3, 0, 1, s[0:1]
	v_lshl_or_b32 v3, v3, 9, v2
	v_cmp_eq_u32_e64 s[0:1], s10, v10
	v_and_b32_sdwa v10, v7, s11 dst_sel:DWORD dst_unused:UNUSED_PAD src0_sel:WORD_1 src1_sel:DWORD
	s_nop 0
	v_cndmask_b32_e64 v3, v6, v3, s[0:1]
	v_cvt_f64_f32_e32 v[6:7], v8
	v_mul_f64 v[6:7], v[6:7], s[6:7]
	v_and_or_b32 v6, v7, s15, v6
	v_cmp_ne_u32_e64 s[0:1], 0, v6
	v_lshrrev_b32_e32 v8, 8, v7
	v_bfe_u32 v12, v7, 20, 11
	v_cndmask_b32_e64 v6, 0, 1, s[0:1]
	v_and_or_b32 v6, v8, s14, v6
	v_sub_u32_e32 v13, 0x3f1, v12
	v_or_b32_e32 v8, 0x1000, v6
	v_med3_i32 v13, v13, 0, 13
	v_lshrrev_b32_e32 v14, v13, v8
	v_lshlrev_b32_e32 v13, v13, v14
	v_cmp_ne_u32_e64 s[0:1], v13, v8
	v_add_u32_e32 v12, 0xfffffc10, v12
	v_lshl_or_b32 v13, v12, 12, v6
	v_cndmask_b32_e64 v8, 0, 1, s[0:1]
	v_or_b32_e32 v8, v14, v8
	v_cmp_gt_i32_e64 s[0:1], 1, v12
	v_lshrrev_b32_e32 v7, 16, v7
	v_bitop3_b32 v3, v10, s4, v3 bitop3:0xc8
	v_cndmask_b32_e64 v8, v13, v8, s[0:1]
	v_and_b32_e32 v13, 7, v8
	v_cmp_lt_i32_e64 s[0:1], 5, v13
	v_cmp_eq_u32_e64 s[2:3], 3, v13
	v_lshrrev_b32_e32 v8, 2, v8
	s_or_b64 s[0:1], s[2:3], s[0:1]
	v_addc_co_u32_e64 v8, s[0:1], 0, v8, s[0:1]
	v_cmp_gt_i32_e64 s[0:1], 31, v12
	s_nop 1
	v_cndmask_b32_e64 v8, v2, v8, s[0:1]
	v_cmp_ne_u32_e64 s[0:1], 0, v6
	s_nop 1
	v_cndmask_b32_e64 v6, 0, 1, s[0:1]
	v_cmp_eq_u32_e64 s[0:1], s10, v12
	ds_read2_b32 v[12:13], v40 offset0:84 offset1:98
	v_lshl_or_b32 v6, v6, 9, v2
	v_cndmask_b32_e64 v6, v8, v6, s[0:1]
	v_and_or_b32 v6, v7, s11, v6
	v_lshl_or_b32 v3, v6, 16, v3
	s_waitcnt lgkmcnt(0)
	v_lshrrev_b32_e32 v8, 16, v12
	v_mul_f16_sdwa v6, v47, v8 dst_sel:DWORD dst_unused:UNUSED_PAD src0_sel:WORD_1 src1_sel:DWORD
	v_fma_f16 v6, v47, v12, v6
	v_cvt_f32_f16_e32 v6, v6
	v_mad_u64_u32 v[4:5], s[0:1], s8, 56, v[4:5]
	v_add_u32_e32 v5, s5, v5
	v_cvt_f64_f32_e32 v[6:7], v6
	v_mul_f64 v[6:7], v[6:7], s[6:7]
	global_store_dword v[4:5], v3, off
	v_and_or_b32 v3, v7, s15, v6
	v_cmp_ne_u32_e64 s[0:1], 0, v3
	v_lshrrev_b32_e32 v6, 8, v7
	v_bfe_u32 v10, v7, 20, 11
	v_cndmask_b32_e64 v3, 0, 1, s[0:1]
	v_and_or_b32 v3, v6, s14, v3
	v_sub_u32_e32 v14, 0x3f1, v10
	v_or_b32_e32 v6, 0x1000, v3
	v_med3_i32 v14, v14, 0, 13
	v_lshrrev_b32_e32 v15, v14, v6
	v_lshlrev_b32_e32 v14, v14, v15
	v_cmp_ne_u32_e64 s[0:1], v14, v6
	v_add_u32_e32 v10, 0xfffffc10, v10
	v_lshl_or_b32 v14, v10, 12, v3
	v_cndmask_b32_e64 v6, 0, 1, s[0:1]
	v_or_b32_e32 v6, v15, v6
	v_cmp_gt_i32_e64 s[0:1], 1, v10
	v_mul_f16_sdwa v12, v47, v12 dst_sel:DWORD dst_unused:UNUSED_PAD src0_sel:WORD_1 src1_sel:DWORD
	v_fma_f16 v8, v47, v8, -v12
	v_cndmask_b32_e64 v6, v14, v6, s[0:1]
	v_and_b32_e32 v14, 7, v6
	v_cmp_lt_i32_e64 s[0:1], 5, v14
	v_cmp_eq_u32_e64 s[2:3], 3, v14
	v_lshrrev_b32_e32 v6, 2, v6
	s_or_b64 s[0:1], s[2:3], s[0:1]
	v_addc_co_u32_e64 v6, s[0:1], 0, v6, s[0:1]
	v_cmp_gt_i32_e64 s[0:1], 31, v10
	v_cvt_f32_f16_e32 v8, v8
	s_nop 0
	v_cndmask_b32_e64 v6, v2, v6, s[0:1]
	v_cmp_ne_u32_e64 s[0:1], 0, v3
	s_nop 1
	v_cndmask_b32_e64 v3, 0, 1, s[0:1]
	v_lshl_or_b32 v3, v3, 9, v2
	v_cmp_eq_u32_e64 s[0:1], s10, v10
	v_and_b32_sdwa v10, v7, s11 dst_sel:DWORD dst_unused:UNUSED_PAD src0_sel:WORD_1 src1_sel:DWORD
	s_nop 0
	v_cndmask_b32_e64 v3, v6, v3, s[0:1]
	v_cvt_f64_f32_e32 v[6:7], v8
	v_mul_f64 v[6:7], v[6:7], s[6:7]
	v_and_or_b32 v6, v7, s15, v6
	v_cmp_ne_u32_e64 s[0:1], 0, v6
	v_lshrrev_b32_e32 v8, 8, v7
	v_bfe_u32 v12, v7, 20, 11
	v_cndmask_b32_e64 v6, 0, 1, s[0:1]
	v_and_or_b32 v6, v8, s14, v6
	v_sub_u32_e32 v14, 0x3f1, v12
	v_or_b32_e32 v8, 0x1000, v6
	v_med3_i32 v14, v14, 0, 13
	v_lshrrev_b32_e32 v15, v14, v8
	v_lshlrev_b32_e32 v14, v14, v15
	v_cmp_ne_u32_e64 s[0:1], v14, v8
	v_add_u32_e32 v12, 0xfffffc10, v12
	v_lshl_or_b32 v14, v12, 12, v6
	v_cndmask_b32_e64 v8, 0, 1, s[0:1]
	v_or_b32_e32 v8, v15, v8
	v_cmp_gt_i32_e64 s[0:1], 1, v12
	v_lshrrev_b32_e32 v7, 16, v7
	v_bitop3_b32 v3, v10, s4, v3 bitop3:0xc8
	v_cndmask_b32_e64 v8, v14, v8, s[0:1]
	v_and_b32_e32 v14, 7, v8
	v_cmp_lt_i32_e64 s[0:1], 5, v14
	v_cmp_eq_u32_e64 s[2:3], 3, v14
	v_lshrrev_b32_e32 v8, 2, v8
	s_or_b64 s[0:1], s[2:3], s[0:1]
	v_addc_co_u32_e64 v8, s[0:1], 0, v8, s[0:1]
	v_cmp_gt_i32_e64 s[0:1], 31, v12
	s_nop 1
	v_cndmask_b32_e64 v8, v2, v8, s[0:1]
	v_cmp_ne_u32_e64 s[0:1], 0, v6
	s_nop 1
	v_cndmask_b32_e64 v6, 0, 1, s[0:1]
	v_lshl_or_b32 v6, v6, 9, v2
	v_cmp_eq_u32_e64 s[0:1], s10, v12
	s_nop 1
	v_cndmask_b32_e64 v6, v8, v6, s[0:1]
	v_and_or_b32 v6, v7, s11, v6
	v_lshrrev_b32_e32 v8, 16, v13
	v_lshl_or_b32 v3, v6, 16, v3
	v_mul_f16_sdwa v6, v46, v8 dst_sel:DWORD dst_unused:UNUSED_PAD src0_sel:WORD_1 src1_sel:DWORD
	v_fma_f16 v6, v46, v13, v6
	v_cvt_f32_f16_e32 v6, v6
	v_mad_u64_u32 v[4:5], s[0:1], s8, 56, v[4:5]
	v_add_u32_e32 v5, s5, v5
	v_cvt_f64_f32_e32 v[6:7], v6
	v_mul_f64 v[6:7], v[6:7], s[6:7]
	global_store_dword v[4:5], v3, off
	v_and_or_b32 v3, v7, s15, v6
	v_cmp_ne_u32_e64 s[0:1], 0, v3
	v_lshrrev_b32_e32 v6, 8, v7
	v_bfe_u32 v10, v7, 20, 11
	v_cndmask_b32_e64 v3, 0, 1, s[0:1]
	v_and_or_b32 v3, v6, s14, v3
	v_sub_u32_e32 v12, 0x3f1, v10
	v_or_b32_e32 v6, 0x1000, v3
	v_med3_i32 v12, v12, 0, 13
	v_lshrrev_b32_e32 v14, v12, v6
	v_lshlrev_b32_e32 v12, v12, v14
	v_cmp_ne_u32_e64 s[0:1], v12, v6
	v_add_u32_e32 v10, 0xfffffc10, v10
	v_lshl_or_b32 v12, v10, 12, v3
	v_cndmask_b32_e64 v6, 0, 1, s[0:1]
	v_or_b32_e32 v6, v14, v6
	v_cmp_gt_i32_e64 s[0:1], 1, v10
	s_nop 1
	v_cndmask_b32_e64 v6, v12, v6, s[0:1]
	v_and_b32_e32 v12, 7, v6
	v_cmp_lt_i32_e64 s[0:1], 5, v12
	v_cmp_eq_u32_e64 s[2:3], 3, v12
	v_lshrrev_b32_e32 v6, 2, v6
	s_or_b64 s[0:1], s[2:3], s[0:1]
	v_mul_f16_sdwa v12, v46, v13 dst_sel:DWORD dst_unused:UNUSED_PAD src0_sel:WORD_1 src1_sel:DWORD
	v_addc_co_u32_e64 v6, s[0:1], 0, v6, s[0:1]
	v_fma_f16 v8, v46, v8, -v12
	v_cmp_gt_i32_e64 s[0:1], 31, v10
	v_cvt_f32_f16_e32 v8, v8
	s_nop 0
	v_cndmask_b32_e64 v6, v2, v6, s[0:1]
	v_cmp_ne_u32_e64 s[0:1], 0, v3
	s_nop 1
	v_cndmask_b32_e64 v3, 0, 1, s[0:1]
	v_lshl_or_b32 v3, v3, 9, v2
	v_cmp_eq_u32_e64 s[0:1], s10, v10
	v_and_b32_sdwa v10, v7, s11 dst_sel:DWORD dst_unused:UNUSED_PAD src0_sel:WORD_1 src1_sel:DWORD
	s_nop 0
	v_cndmask_b32_e64 v3, v6, v3, s[0:1]
	v_cvt_f64_f32_e32 v[6:7], v8
	v_mul_f64 v[6:7], v[6:7], s[6:7]
	v_and_or_b32 v6, v7, s15, v6
	v_cmp_ne_u32_e64 s[0:1], 0, v6
	v_lshrrev_b32_e32 v8, 8, v7
	v_bfe_u32 v12, v7, 20, 11
	v_cndmask_b32_e64 v6, 0, 1, s[0:1]
	v_and_or_b32 v6, v8, s14, v6
	v_sub_u32_e32 v13, 0x3f1, v12
	v_or_b32_e32 v8, 0x1000, v6
	v_med3_i32 v13, v13, 0, 13
	v_lshrrev_b32_e32 v14, v13, v8
	v_lshlrev_b32_e32 v13, v13, v14
	v_cmp_ne_u32_e64 s[0:1], v13, v8
	v_add_u32_e32 v12, 0xfffffc10, v12
	v_lshl_or_b32 v13, v12, 12, v6
	v_cndmask_b32_e64 v8, 0, 1, s[0:1]
	v_or_b32_e32 v8, v14, v8
	v_cmp_gt_i32_e64 s[0:1], 1, v12
	v_lshrrev_b32_e32 v7, 16, v7
	v_bitop3_b32 v3, v10, s4, v3 bitop3:0xc8
	v_cndmask_b32_e64 v8, v13, v8, s[0:1]
	v_and_b32_e32 v13, 7, v8
	v_cmp_lt_i32_e64 s[0:1], 5, v13
	v_cmp_eq_u32_e64 s[2:3], 3, v13
	v_lshrrev_b32_e32 v8, 2, v8
	s_or_b64 s[0:1], s[2:3], s[0:1]
	v_addc_co_u32_e64 v8, s[0:1], 0, v8, s[0:1]
	v_cmp_gt_i32_e64 s[0:1], 31, v12
	s_nop 1
	v_cndmask_b32_e64 v8, v2, v8, s[0:1]
	v_cmp_ne_u32_e64 s[0:1], 0, v6
	s_nop 1
	v_cndmask_b32_e64 v6, 0, 1, s[0:1]
	v_cmp_eq_u32_e64 s[0:1], s10, v12
	ds_read2_b32 v[12:13], v40 offset0:112 offset1:126
	v_lshl_or_b32 v6, v6, 9, v2
	v_cndmask_b32_e64 v6, v8, v6, s[0:1]
	v_and_or_b32 v6, v7, s11, v6
	v_lshl_or_b32 v3, v6, 16, v3
	s_waitcnt lgkmcnt(0)
	v_lshrrev_b32_e32 v8, 16, v12
	v_mul_f16_sdwa v6, v45, v8 dst_sel:DWORD dst_unused:UNUSED_PAD src0_sel:WORD_1 src1_sel:DWORD
	v_fma_f16 v6, v45, v12, v6
	v_cvt_f32_f16_e32 v6, v6
	v_mad_u64_u32 v[4:5], s[0:1], s8, 56, v[4:5]
	v_add_u32_e32 v5, s5, v5
	v_cvt_f64_f32_e32 v[6:7], v6
	v_mul_f64 v[6:7], v[6:7], s[6:7]
	global_store_dword v[4:5], v3, off
	v_and_or_b32 v3, v7, s15, v6
	v_cmp_ne_u32_e64 s[0:1], 0, v3
	v_lshrrev_b32_e32 v6, 8, v7
	v_bfe_u32 v10, v7, 20, 11
	v_cndmask_b32_e64 v3, 0, 1, s[0:1]
	v_and_or_b32 v3, v6, s14, v3
	v_sub_u32_e32 v14, 0x3f1, v10
	v_or_b32_e32 v6, 0x1000, v3
	v_med3_i32 v14, v14, 0, 13
	v_lshrrev_b32_e32 v15, v14, v6
	v_lshlrev_b32_e32 v14, v14, v15
	v_cmp_ne_u32_e64 s[0:1], v14, v6
	v_add_u32_e32 v10, 0xfffffc10, v10
	v_lshl_or_b32 v14, v10, 12, v3
	v_cndmask_b32_e64 v6, 0, 1, s[0:1]
	v_or_b32_e32 v6, v15, v6
	v_cmp_gt_i32_e64 s[0:1], 1, v10
	v_mul_f16_sdwa v12, v45, v12 dst_sel:DWORD dst_unused:UNUSED_PAD src0_sel:WORD_1 src1_sel:DWORD
	v_fma_f16 v8, v45, v8, -v12
	v_cndmask_b32_e64 v6, v14, v6, s[0:1]
	v_and_b32_e32 v14, 7, v6
	v_cmp_lt_i32_e64 s[0:1], 5, v14
	v_cmp_eq_u32_e64 s[2:3], 3, v14
	v_lshrrev_b32_e32 v6, 2, v6
	s_or_b64 s[0:1], s[2:3], s[0:1]
	v_addc_co_u32_e64 v6, s[0:1], 0, v6, s[0:1]
	v_cmp_gt_i32_e64 s[0:1], 31, v10
	v_cvt_f32_f16_e32 v8, v8
	s_nop 0
	v_cndmask_b32_e64 v6, v2, v6, s[0:1]
	v_cmp_ne_u32_e64 s[0:1], 0, v3
	s_nop 1
	v_cndmask_b32_e64 v3, 0, 1, s[0:1]
	v_lshl_or_b32 v3, v3, 9, v2
	v_cmp_eq_u32_e64 s[0:1], s10, v10
	v_and_b32_sdwa v10, v7, s11 dst_sel:DWORD dst_unused:UNUSED_PAD src0_sel:WORD_1 src1_sel:DWORD
	s_nop 0
	v_cndmask_b32_e64 v3, v6, v3, s[0:1]
	v_cvt_f64_f32_e32 v[6:7], v8
	v_mul_f64 v[6:7], v[6:7], s[6:7]
	v_and_or_b32 v6, v7, s15, v6
	v_cmp_ne_u32_e64 s[0:1], 0, v6
	v_lshrrev_b32_e32 v8, 8, v7
	v_bfe_u32 v12, v7, 20, 11
	v_cndmask_b32_e64 v6, 0, 1, s[0:1]
	v_and_or_b32 v6, v8, s14, v6
	v_sub_u32_e32 v14, 0x3f1, v12
	v_or_b32_e32 v8, 0x1000, v6
	v_med3_i32 v14, v14, 0, 13
	v_lshrrev_b32_e32 v15, v14, v8
	v_lshlrev_b32_e32 v14, v14, v15
	v_cmp_ne_u32_e64 s[0:1], v14, v8
	v_add_u32_e32 v12, 0xfffffc10, v12
	v_lshl_or_b32 v14, v12, 12, v6
	v_cndmask_b32_e64 v8, 0, 1, s[0:1]
	v_or_b32_e32 v8, v15, v8
	v_cmp_gt_i32_e64 s[0:1], 1, v12
	v_lshrrev_b32_e32 v7, 16, v7
	v_bitop3_b32 v3, v10, s4, v3 bitop3:0xc8
	v_cndmask_b32_e64 v8, v14, v8, s[0:1]
	v_and_b32_e32 v14, 7, v8
	v_cmp_lt_i32_e64 s[0:1], 5, v14
	v_cmp_eq_u32_e64 s[2:3], 3, v14
	v_lshrrev_b32_e32 v8, 2, v8
	s_or_b64 s[0:1], s[2:3], s[0:1]
	v_addc_co_u32_e64 v8, s[0:1], 0, v8, s[0:1]
	v_cmp_gt_i32_e64 s[0:1], 31, v12
	s_nop 1
	v_cndmask_b32_e64 v8, v2, v8, s[0:1]
	v_cmp_ne_u32_e64 s[0:1], 0, v6
	s_nop 1
	v_cndmask_b32_e64 v6, 0, 1, s[0:1]
	v_lshl_or_b32 v6, v6, 9, v2
	v_cmp_eq_u32_e64 s[0:1], s10, v12
	s_nop 1
	v_cndmask_b32_e64 v6, v8, v6, s[0:1]
	v_and_or_b32 v12, v7, s11, v6
	v_mad_u64_u32 v[6:7], s[0:1], s8, v44, 0
	v_mov_b32_e32 v8, v7
	v_mad_u64_u32 v[14:15], s[0:1], s9, v44, v[8:9]
	v_lshrrev_b32_e32 v8, 16, v13
	v_mul_f16_sdwa v10, v43, v8 dst_sel:DWORD dst_unused:UNUSED_PAD src0_sel:WORD_1 src1_sel:DWORD
	v_fma_f16 v10, v43, v13, v10
	v_cvt_f32_f16_e32 v10, v10
	v_mov_b32_e32 v7, v14
	v_lshl_or_b32 v3, v12, 16, v3
	v_lshl_add_u64 v[6:7], v[6:7], 2, v[0:1]
	global_store_dword v[6:7], v3, off
	v_cvt_f64_f32_e32 v[6:7], v10
	v_mul_f64 v[6:7], v[6:7], s[6:7]
	v_and_or_b32 v3, v7, s15, v6
	v_cmp_ne_u32_e64 s[0:1], 0, v3
	v_lshrrev_b32_e32 v6, 8, v7
	v_bfe_u32 v10, v7, 20, 11
	v_cndmask_b32_e64 v3, 0, 1, s[0:1]
	v_and_or_b32 v3, v6, s14, v3
	v_sub_u32_e32 v12, 0x3f1, v10
	v_or_b32_e32 v6, 0x1000, v3
	v_med3_i32 v12, v12, 0, 13
	v_lshrrev_b32_e32 v14, v12, v6
	v_lshlrev_b32_e32 v12, v12, v14
	v_cmp_ne_u32_e64 s[0:1], v12, v6
	v_add_u32_e32 v10, 0xfffffc10, v10
	v_lshl_or_b32 v12, v10, 12, v3
	v_cndmask_b32_e64 v6, 0, 1, s[0:1]
	v_or_b32_e32 v6, v14, v6
	v_cmp_gt_i32_e64 s[0:1], 1, v10
	s_nop 1
	v_cndmask_b32_e64 v6, v12, v6, s[0:1]
	v_and_b32_e32 v12, 7, v6
	v_cmp_lt_i32_e64 s[0:1], 5, v12
	v_cmp_eq_u32_e64 s[2:3], 3, v12
	v_lshrrev_b32_e32 v6, 2, v6
	s_or_b64 s[0:1], s[2:3], s[0:1]
	v_mul_f16_sdwa v12, v43, v13 dst_sel:DWORD dst_unused:UNUSED_PAD src0_sel:WORD_1 src1_sel:DWORD
	v_addc_co_u32_e64 v6, s[0:1], 0, v6, s[0:1]
	v_fma_f16 v8, v43, v8, -v12
	v_cmp_gt_i32_e64 s[0:1], 31, v10
	v_cvt_f32_f16_e32 v8, v8
	s_nop 0
	v_cndmask_b32_e64 v6, v2, v6, s[0:1]
	v_cmp_ne_u32_e64 s[0:1], 0, v3
	s_nop 1
	v_cndmask_b32_e64 v3, 0, 1, s[0:1]
	v_lshl_or_b32 v3, v3, 9, v2
	v_cmp_eq_u32_e64 s[0:1], s10, v10
	v_and_b32_sdwa v10, v7, s11 dst_sel:DWORD dst_unused:UNUSED_PAD src0_sel:WORD_1 src1_sel:DWORD
	s_nop 0
	v_cndmask_b32_e64 v3, v6, v3, s[0:1]
	v_cvt_f64_f32_e32 v[6:7], v8
	v_mul_f64 v[6:7], v[6:7], s[6:7]
	v_and_or_b32 v6, v7, s15, v6
	v_cmp_ne_u32_e64 s[0:1], 0, v6
	v_lshrrev_b32_e32 v8, 8, v7
	v_bfe_u32 v12, v7, 20, 11
	v_cndmask_b32_e64 v6, 0, 1, s[0:1]
	v_and_or_b32 v6, v8, s14, v6
	v_sub_u32_e32 v13, 0x3f1, v12
	v_or_b32_e32 v8, 0x1000, v6
	v_med3_i32 v13, v13, 0, 13
	v_lshrrev_b32_e32 v14, v13, v8
	v_lshlrev_b32_e32 v13, v13, v14
	v_cmp_ne_u32_e64 s[0:1], v13, v8
	v_add_u32_e32 v12, 0xfffffc10, v12
	v_lshl_or_b32 v13, v12, 12, v6
	v_cndmask_b32_e64 v8, 0, 1, s[0:1]
	v_or_b32_e32 v8, v14, v8
	v_cmp_gt_i32_e64 s[0:1], 1, v12
	v_lshrrev_b32_e32 v7, 16, v7
	v_bitop3_b32 v3, v10, s4, v3 bitop3:0xc8
	v_cndmask_b32_e64 v8, v13, v8, s[0:1]
	v_and_b32_e32 v13, 7, v8
	v_cmp_lt_i32_e64 s[0:1], 5, v13
	v_cmp_eq_u32_e64 s[2:3], 3, v13
	v_lshrrev_b32_e32 v8, 2, v8
	s_or_b64 s[0:1], s[2:3], s[0:1]
	v_addc_co_u32_e64 v8, s[0:1], 0, v8, s[0:1]
	v_cmp_gt_i32_e64 s[0:1], 31, v12
	s_nop 1
	v_cndmask_b32_e64 v8, v2, v8, s[0:1]
	v_cmp_ne_u32_e64 s[0:1], 0, v6
	s_nop 1
	v_cndmask_b32_e64 v6, 0, 1, s[0:1]
	v_lshl_or_b32 v6, v6, 9, v2
	v_cmp_eq_u32_e64 s[0:1], s10, v12
	s_nop 1
	v_cndmask_b32_e64 v6, v8, v6, s[0:1]
	v_and_or_b32 v8, v7, s11, v6
	ds_read2_b32 v[6:7], v40 offset0:140 offset1:154
	v_lshl_or_b32 v3, v8, 16, v3
	v_mov_b32_e32 v8, 0x70
	v_mad_u64_u32 v[4:5], s[0:1], s8, v8, v[4:5]
	s_waitcnt lgkmcnt(0)
	v_lshrrev_b32_e32 v8, 16, v6
	v_mul_f16_sdwa v10, v42, v8 dst_sel:DWORD dst_unused:UNUSED_PAD src0_sel:WORD_1 src1_sel:DWORD
	v_fma_f16 v10, v42, v6, v10
	v_cvt_f32_f16_e32 v10, v10
	s_mul_i32 s0, s9, 0x70
	v_add_u32_e32 v5, s0, v5
	global_store_dword v[4:5], v3, off
	v_cvt_f64_f32_e32 v[12:13], v10
	v_mul_f64 v[12:13], v[12:13], s[6:7]
	v_and_or_b32 v3, v13, s15, v12
	v_cmp_ne_u32_e64 s[0:1], 0, v3
	v_lshrrev_b32_e32 v10, 8, v13
	v_bfe_u32 v12, v13, 20, 11
	v_cndmask_b32_e64 v3, 0, 1, s[0:1]
	v_and_or_b32 v3, v10, s14, v3
	v_sub_u32_e32 v14, 0x3f1, v12
	v_or_b32_e32 v10, 0x1000, v3
	v_med3_i32 v14, v14, 0, 13
	v_lshrrev_b32_e32 v15, v14, v10
	v_lshlrev_b32_e32 v14, v14, v15
	v_cmp_ne_u32_e64 s[0:1], v14, v10
	v_add_u32_e32 v12, 0xfffffc10, v12
	v_lshl_or_b32 v14, v12, 12, v3
	v_cndmask_b32_e64 v10, 0, 1, s[0:1]
	v_or_b32_e32 v10, v15, v10
	v_cmp_gt_i32_e64 s[0:1], 1, v12
	v_mul_f16_sdwa v6, v42, v6 dst_sel:DWORD dst_unused:UNUSED_PAD src0_sel:WORD_1 src1_sel:DWORD
	v_fma_f16 v6, v42, v8, -v6
	v_cndmask_b32_e64 v10, v14, v10, s[0:1]
	v_and_b32_e32 v14, 7, v10
	v_cmp_lt_i32_e64 s[0:1], 5, v14
	v_cmp_eq_u32_e64 s[2:3], 3, v14
	v_lshrrev_b32_e32 v10, 2, v10
	s_or_b64 s[0:1], s[2:3], s[0:1]
	v_cvt_f32_f16_e32 v6, v6
	v_addc_co_u32_e64 v10, s[0:1], 0, v10, s[0:1]
	v_cmp_gt_i32_e64 s[0:1], 31, v12
	v_and_b32_sdwa v8, v13, s11 dst_sel:DWORD dst_unused:UNUSED_PAD src0_sel:WORD_1 src1_sel:DWORD
	s_nop 0
	v_cndmask_b32_e64 v10, v2, v10, s[0:1]
	v_cmp_ne_u32_e64 s[0:1], 0, v3
	s_nop 1
	v_cndmask_b32_e64 v3, 0, 1, s[0:1]
	v_cmp_eq_u32_e64 s[0:1], s10, v12
	v_cvt_f64_f32_e32 v[12:13], v6
	v_mul_f64 v[12:13], v[12:13], s[6:7]
	v_lshl_or_b32 v3, v3, 9, v2
	v_and_or_b32 v6, v13, s15, v12
	v_cndmask_b32_e64 v3, v10, v3, s[0:1]
	v_cmp_ne_u32_e64 s[0:1], 0, v6
	v_lshrrev_b32_e32 v10, 8, v13
	v_bfe_u32 v12, v13, 20, 11
	v_cndmask_b32_e64 v6, 0, 1, s[0:1]
	v_and_or_b32 v6, v10, s14, v6
	v_sub_u32_e32 v14, 0x3f1, v12
	v_or_b32_e32 v10, 0x1000, v6
	v_med3_i32 v14, v14, 0, 13
	v_lshrrev_b32_e32 v15, v14, v10
	v_lshlrev_b32_e32 v14, v14, v15
	v_cmp_ne_u32_e64 s[0:1], v14, v10
	v_add_u32_e32 v12, 0xfffffc10, v12
	v_lshl_or_b32 v14, v12, 12, v6
	v_cndmask_b32_e64 v10, 0, 1, s[0:1]
	v_or_b32_e32 v10, v15, v10
	v_cmp_gt_i32_e64 s[0:1], 1, v12
	v_bitop3_b32 v3, v8, s4, v3 bitop3:0xc8
	s_nop 0
	v_cndmask_b32_e64 v10, v14, v10, s[0:1]
	v_and_b32_e32 v14, 7, v10
	v_cmp_lt_i32_e64 s[0:1], 5, v14
	v_cmp_eq_u32_e64 s[2:3], 3, v14
	v_lshrrev_b32_e32 v10, 2, v10
	s_or_b64 s[0:1], s[2:3], s[0:1]
	v_addc_co_u32_e64 v10, s[0:1], 0, v10, s[0:1]
	v_cmp_gt_i32_e64 s[0:1], 31, v12
	s_nop 1
	v_cndmask_b32_e64 v10, v2, v10, s[0:1]
	v_cmp_ne_u32_e64 s[0:1], 0, v6
	s_nop 1
	v_cndmask_b32_e64 v6, 0, 1, s[0:1]
	v_lshl_or_b32 v6, v6, 9, v2
	v_cmp_eq_u32_e64 s[0:1], s10, v12
	s_nop 1
	v_cndmask_b32_e64 v6, v10, v6, s[0:1]
	v_lshrrev_b32_e32 v10, 16, v13
	v_and_or_b32 v6, v10, s11, v6
	v_lshl_or_b32 v3, v6, 16, v3
	v_lshrrev_b32_e32 v6, 16, v7
	v_mul_f16_sdwa v8, v41, v6 dst_sel:DWORD dst_unused:UNUSED_PAD src0_sel:WORD_1 src1_sel:DWORD
	v_fma_f16 v8, v41, v7, v8
	v_cvt_f32_f16_e32 v8, v8
	v_mad_u64_u32 v[4:5], s[0:1], s8, 56, v[4:5]
	v_add_u32_e32 v5, s5, v5
	v_cvt_f64_f32_e32 v[12:13], v8
	v_mul_f64 v[12:13], v[12:13], s[6:7]
	global_store_dword v[4:5], v3, off
	v_and_or_b32 v3, v13, s15, v12
	v_cmp_ne_u32_e64 s[0:1], 0, v3
	v_lshrrev_b32_e32 v8, 8, v13
	v_bfe_u32 v10, v13, 20, 11
	v_cndmask_b32_e64 v3, 0, 1, s[0:1]
	v_and_or_b32 v3, v8, s14, v3
	v_sub_u32_e32 v12, 0x3f1, v10
	v_or_b32_e32 v8, 0x1000, v3
	v_med3_i32 v12, v12, 0, 13
	v_lshrrev_b32_e32 v14, v12, v8
	v_lshlrev_b32_e32 v12, v12, v14
	v_cmp_ne_u32_e64 s[0:1], v12, v8
	v_add_u32_e32 v10, 0xfffffc10, v10
	v_lshl_or_b32 v12, v10, 12, v3
	v_cndmask_b32_e64 v8, 0, 1, s[0:1]
	v_or_b32_e32 v8, v14, v8
	v_cmp_gt_i32_e64 s[0:1], 1, v10
	v_mul_f16_sdwa v7, v41, v7 dst_sel:DWORD dst_unused:UNUSED_PAD src0_sel:WORD_1 src1_sel:DWORD
	v_fma_f16 v6, v41, v6, -v7
	v_cndmask_b32_e64 v8, v12, v8, s[0:1]
	v_and_b32_e32 v12, 7, v8
	v_cmp_lt_i32_e64 s[0:1], 5, v12
	v_cmp_eq_u32_e64 s[2:3], 3, v12
	v_cvt_f32_f16_e32 v6, v6
	v_lshrrev_b32_e32 v8, 2, v8
	s_or_b64 s[0:1], s[2:3], s[0:1]
	v_addc_co_u32_e64 v8, s[0:1], 0, v8, s[0:1]
	v_cmp_gt_i32_e64 s[0:1], 31, v10
	v_cvt_f64_f32_e32 v[6:7], v6
	v_mul_f64 v[6:7], v[6:7], s[6:7]
	v_cndmask_b32_e64 v8, v2, v8, s[0:1]
	v_cmp_ne_u32_e64 s[0:1], 0, v3
	v_and_or_b32 v6, v7, s15, v6
	v_bfe_u32 v12, v7, 20, 11
	v_cndmask_b32_e64 v3, 0, 1, s[0:1]
	v_lshl_or_b32 v3, v3, 9, v2
	v_cmp_eq_u32_e64 s[0:1], s10, v10
	v_lshrrev_b32_e32 v10, 8, v7
	v_lshrrev_b32_e32 v7, 16, v7
	v_cndmask_b32_e64 v3, v8, v3, s[0:1]
	v_cmp_ne_u32_e64 s[0:1], 0, v6
	v_and_b32_sdwa v8, v13, s11 dst_sel:DWORD dst_unused:UNUSED_PAD src0_sel:WORD_1 src1_sel:DWORD
	v_sub_u32_e32 v13, 0x3f1, v12
	v_cndmask_b32_e64 v6, 0, 1, s[0:1]
	v_and_or_b32 v6, v10, s14, v6
	v_or_b32_e32 v10, 0x1000, v6
	v_med3_i32 v13, v13, 0, 13
	v_lshrrev_b32_e32 v14, v13, v10
	v_lshlrev_b32_e32 v13, v13, v14
	v_cmp_ne_u32_e64 s[0:1], v13, v10
	v_add_u32_e32 v12, 0xfffffc10, v12
	v_lshl_or_b32 v13, v12, 12, v6
	v_cndmask_b32_e64 v10, 0, 1, s[0:1]
	v_or_b32_e32 v10, v14, v10
	v_cmp_gt_i32_e64 s[0:1], 1, v12
	v_bitop3_b32 v3, v8, s4, v3 bitop3:0xc8
	s_nop 0
	v_cndmask_b32_e64 v10, v13, v10, s[0:1]
	v_and_b32_e32 v13, 7, v10
	v_cmp_lt_i32_e64 s[0:1], 5, v13
	v_cmp_eq_u32_e64 s[2:3], 3, v13
	v_lshrrev_b32_e32 v10, 2, v10
	s_or_b64 s[0:1], s[2:3], s[0:1]
	v_addc_co_u32_e64 v10, s[0:1], 0, v10, s[0:1]
	v_cmp_gt_i32_e64 s[0:1], 31, v12
	s_nop 1
	v_cndmask_b32_e64 v10, v2, v10, s[0:1]
	v_cmp_ne_u32_e64 s[0:1], 0, v6
	s_nop 1
	v_cndmask_b32_e64 v6, 0, 1, s[0:1]
	v_lshl_or_b32 v6, v6, 9, v2
	v_cmp_eq_u32_e64 s[0:1], s10, v12
	s_nop 1
	v_cndmask_b32_e64 v6, v10, v6, s[0:1]
	ds_read_b32 v10, v40 offset:672
	v_and_or_b32 v6, v7, s11, v6
	v_lshl_or_b32 v3, v6, 16, v3
	v_mad_u64_u32 v[4:5], s[0:1], s8, 56, v[4:5]
	s_waitcnt lgkmcnt(0)
	v_lshrrev_b32_e32 v8, 16, v10
	v_mul_f16_sdwa v6, v11, v8 dst_sel:DWORD dst_unused:UNUSED_PAD src0_sel:WORD_1 src1_sel:DWORD
	v_fma_f16 v6, v11, v10, v6
	v_cvt_f32_f16_e32 v6, v6
	v_add_u32_e32 v5, s5, v5
	global_store_dword v[4:5], v3, off
	v_mul_f16_sdwa v10, v11, v10 dst_sel:DWORD dst_unused:UNUSED_PAD src0_sel:WORD_1 src1_sel:DWORD
	v_cvt_f64_f32_e32 v[6:7], v6
	v_mul_f64 v[6:7], v[6:7], s[6:7]
	v_and_or_b32 v3, v7, s15, v6
	v_cmp_ne_u32_e64 s[0:1], 0, v3
	v_lshrrev_b32_e32 v6, 8, v7
	v_bfe_u32 v12, v7, 20, 11
	v_cndmask_b32_e64 v3, 0, 1, s[0:1]
	v_and_or_b32 v3, v6, s14, v3
	v_sub_u32_e32 v13, 0x3f1, v12
	v_or_b32_e32 v6, 0x1000, v3
	v_med3_i32 v13, v13, 0, 13
	v_lshrrev_b32_e32 v14, v13, v6
	v_lshlrev_b32_e32 v13, v13, v14
	v_cmp_ne_u32_e64 s[0:1], v13, v6
	v_add_u32_e32 v12, 0xfffffc10, v12
	v_lshl_or_b32 v13, v12, 12, v3
	v_cndmask_b32_e64 v6, 0, 1, s[0:1]
	v_or_b32_e32 v6, v14, v6
	v_cmp_gt_i32_e64 s[0:1], 1, v12
	v_fma_f16 v8, v11, v8, -v10
	v_cvt_f32_f16_e32 v8, v8
	v_cndmask_b32_e64 v6, v13, v6, s[0:1]
	v_and_b32_e32 v13, 7, v6
	v_cmp_lt_i32_e64 s[0:1], 5, v13
	v_cmp_eq_u32_e64 s[2:3], 3, v13
	v_lshrrev_b32_e32 v6, 2, v6
	s_or_b64 s[0:1], s[2:3], s[0:1]
	v_addc_co_u32_e64 v6, s[0:1], 0, v6, s[0:1]
	v_cmp_gt_i32_e64 s[0:1], 31, v12
	v_and_b32_sdwa v10, v7, s11 dst_sel:DWORD dst_unused:UNUSED_PAD src0_sel:WORD_1 src1_sel:DWORD
	s_nop 0
	v_cndmask_b32_e64 v6, v2, v6, s[0:1]
	v_cmp_ne_u32_e64 s[0:1], 0, v3
	s_nop 1
	v_cndmask_b32_e64 v3, 0, 1, s[0:1]
	v_lshl_or_b32 v3, v3, 9, v2
	v_cmp_eq_u32_e64 s[0:1], s10, v12
	s_nop 1
	v_cndmask_b32_e64 v3, v6, v3, s[0:1]
	v_cvt_f64_f32_e32 v[6:7], v8
	v_mul_f64 v[6:7], v[6:7], s[6:7]
	v_and_or_b32 v6, v7, s15, v6
	v_cmp_ne_u32_e64 s[0:1], 0, v6
	v_lshrrev_b32_e32 v8, 8, v7
	v_bfe_u32 v11, v7, 20, 11
	v_cndmask_b32_e64 v6, 0, 1, s[0:1]
	v_and_or_b32 v6, v8, s14, v6
	v_sub_u32_e32 v12, 0x3f1, v11
	v_or_b32_e32 v8, 0x1000, v6
	v_med3_i32 v12, v12, 0, 13
	v_lshrrev_b32_e32 v13, v12, v8
	v_lshlrev_b32_e32 v12, v12, v13
	v_cmp_ne_u32_e64 s[0:1], v12, v8
	v_add_u32_e32 v11, 0xfffffc10, v11
	v_lshl_or_b32 v12, v11, 12, v6
	v_cndmask_b32_e64 v8, 0, 1, s[0:1]
	v_or_b32_e32 v8, v13, v8
	v_cmp_gt_i32_e64 s[0:1], 1, v11
	v_lshrrev_b32_e32 v7, 16, v7
	v_bitop3_b32 v3, v10, s4, v3 bitop3:0xc8
	v_cndmask_b32_e64 v8, v12, v8, s[0:1]
	v_and_b32_e32 v12, 7, v8
	v_cmp_lt_i32_e64 s[0:1], 5, v12
	v_cmp_eq_u32_e64 s[2:3], 3, v12
	v_lshrrev_b32_e32 v8, 2, v8
	s_or_b64 s[0:1], s[2:3], s[0:1]
	v_addc_co_u32_e64 v8, s[0:1], 0, v8, s[0:1]
	v_cmp_gt_i32_e64 s[0:1], 31, v11
	s_nop 1
	v_cndmask_b32_e64 v8, v2, v8, s[0:1]
	v_cmp_ne_u32_e64 s[0:1], 0, v6
	s_nop 1
	v_cndmask_b32_e64 v6, 0, 1, s[0:1]
	v_lshl_or_b32 v6, v6, 9, v2
	v_cmp_eq_u32_e64 s[0:1], s10, v11
	s_nop 1
	v_cndmask_b32_e64 v6, v8, v6, s[0:1]
	v_and_or_b32 v6, v7, s11, v6
	v_mad_u64_u32 v[4:5], s[0:1], s8, 56, v[4:5]
	v_lshl_or_b32 v3, v6, 16, v3
	v_add_u32_e32 v5, s5, v5
	global_store_dword v[4:5], v3, off
	s_and_b64 exec, exec, vcc
	s_cbranch_execz .LBB0_15
; %bb.14:
	v_mov_b32_e32 v3, 0
	global_load_dword v10, v3, s[12:13] offset:52
	ds_read2_b32 v[4:5], v9 offset0:13 offset1:27
	v_mad_u64_u32 v[6:7], s[0:1], s8, 52, v[0:1]
	v_mov_b32_e32 v8, v7
	s_mov_b32 s16, 0xffff
	s_waitcnt lgkmcnt(0)
	v_lshrrev_b32_e32 v7, 16, v4
	s_waitcnt vmcnt(0)
	v_mul_f16_sdwa v11, v7, v10 dst_sel:DWORD dst_unused:UNUSED_PAD src0_sel:DWORD src1_sel:WORD_1
	v_mul_f16_sdwa v12, v4, v10 dst_sel:DWORD dst_unused:UNUSED_PAD src0_sel:DWORD src1_sel:WORD_1
	v_fma_f16 v4, v4, v10, v11
	v_fma_f16 v7, v10, v7, -v12
	v_cvt_f32_f16_e32 v4, v4
	v_cvt_f32_f16_e32 v12, v7
	v_mad_u64_u32 v[10:11], s[0:1], s9, 52, v[8:9]
	v_mov_b32_e32 v7, v10
	v_cvt_f64_f32_e32 v[10:11], v4
	v_cvt_f64_f32_e32 v[12:13], v12
	v_mul_f64 v[10:11], v[10:11], s[6:7]
	v_mul_f64 v[12:13], v[12:13], s[6:7]
	v_and_or_b32 v4, v11, s15, v10
	v_and_or_b32 v12, v13, s15, v12
	v_cmp_ne_u32_e32 vcc, 0, v4
	v_lshrrev_b32_e32 v8, 8, v11
	v_bfe_u32 v10, v11, 20, 11
	v_cndmask_b32_e64 v4, 0, 1, vcc
	v_cmp_ne_u32_e32 vcc, 0, v12
	v_lshrrev_b32_e32 v14, 8, v13
	v_bfe_u32 v15, v13, 20, 11
	v_sub_u32_e32 v16, 0x3f1, v10
	v_cndmask_b32_e64 v12, 0, 1, vcc
	v_and_or_b32 v4, v8, s14, v4
	v_sub_u32_e32 v17, 0x3f1, v15
	v_med3_i32 v8, v16, 0, 13
	v_and_or_b32 v12, v14, s14, v12
	v_or_b32_e32 v16, 0x1000, v4
	v_add_u32_e32 v10, 0xfffffc10, v10
	v_med3_i32 v14, v17, 0, 13
	v_cmp_ne_u32_e32 vcc, 0, v4
	v_or_b32_e32 v18, 0x1000, v12
	v_lshrrev_b32_e32 v20, v8, v16
	v_add_u32_e32 v15, 0xfffffc10, v15
	v_lshl_or_b32 v17, v10, 12, v4
	v_cndmask_b32_e64 v4, 0, 1, vcc
	v_cmp_ne_u32_e32 vcc, 0, v12
	v_lshrrev_b32_e32 v21, v14, v18
	v_lshlrev_b32_e32 v8, v8, v20
	v_lshl_or_b32 v19, v15, 12, v12
	v_cndmask_b32_e64 v12, 0, 1, vcc
	v_lshlrev_b32_e32 v14, v14, v21
	v_cmp_ne_u32_e32 vcc, v8, v16
	v_lshl_or_b32 v4, v4, 9, v2
	v_lshl_or_b32 v12, v12, 9, v2
	v_cndmask_b32_e64 v8, 0, 1, vcc
	v_cmp_ne_u32_e32 vcc, v14, v18
	v_or_b32_e32 v8, v20, v8
	v_and_b32_sdwa v11, v11, s11 dst_sel:DWORD dst_unused:UNUSED_PAD src0_sel:WORD_1 src1_sel:DWORD
	v_cndmask_b32_e64 v14, 0, 1, vcc
	v_cmp_gt_i32_e32 vcc, 1, v10
	v_or_b32_e32 v14, v21, v14
	v_lshrrev_b32_e32 v13, 16, v13
	v_cndmask_b32_e32 v8, v17, v8, vcc
	v_cmp_gt_i32_e32 vcc, 1, v15
	v_and_b32_e32 v16, 7, v8
	v_cmp_eq_u32_e64 s[0:1], 3, v16
	v_cndmask_b32_e32 v14, v19, v14, vcc
	v_cmp_lt_i32_e32 vcc, 5, v16
	v_lshrrev_b32_e32 v8, 2, v8
	v_and_b32_e32 v17, 7, v14
	s_or_b64 vcc, s[0:1], vcc
	v_cmp_lt_i32_e64 s[2:3], 5, v17
	v_cmp_eq_u32_e64 s[4:5], 3, v17
	v_addc_co_u32_e32 v8, vcc, 0, v8, vcc
	v_lshrrev_b32_e32 v14, 2, v14
	s_or_b64 vcc, s[4:5], s[2:3]
	v_addc_co_u32_e32 v14, vcc, 0, v14, vcc
	v_cmp_gt_i32_e32 vcc, 31, v10
	s_mul_i32 s2, s9, 0x6c
	s_nop 0
	v_cndmask_b32_e32 v8, v2, v8, vcc
	v_cmp_gt_i32_e32 vcc, 31, v15
	s_nop 1
	v_cndmask_b32_e32 v14, v2, v14, vcc
	v_cmp_eq_u32_e32 vcc, s10, v10
	s_nop 1
	v_cndmask_b32_e32 v4, v8, v4, vcc
	v_cmp_eq_u32_e32 vcc, s10, v15
	v_bitop3_b32 v4, v11, s16, v4 bitop3:0xc8
	s_nop 0
	v_cndmask_b32_e32 v8, v14, v12, vcc
	v_and_or_b32 v8, v13, s11, v8
	v_lshl_or_b32 v4, v8, 16, v4
	global_store_dword v[6:7], v4, off
	global_load_dword v4, v3, s[12:13] offset:108
	v_lshrrev_b32_e32 v7, 16, v5
	v_mov_b32_e32 v6, 0x6c
	s_waitcnt vmcnt(0)
	v_mul_f16_sdwa v8, v7, v4 dst_sel:DWORD dst_unused:UNUSED_PAD src0_sel:DWORD src1_sel:WORD_1
	v_mul_f16_sdwa v10, v5, v4 dst_sel:DWORD dst_unused:UNUSED_PAD src0_sel:DWORD src1_sel:WORD_1
	v_fma_f16 v5, v5, v4, v8
	v_fma_f16 v4, v4, v7, -v10
	v_cvt_f32_f16_e32 v7, v5
	v_cvt_f32_f16_e32 v8, v4
	v_mad_u64_u32 v[4:5], s[0:1], s8, v6, v[0:1]
	v_cvt_f64_f32_e32 v[6:7], v7
	v_cvt_f64_f32_e32 v[10:11], v8
	v_mul_f64 v[6:7], v[6:7], s[6:7]
	v_mul_f64 v[10:11], v[10:11], s[6:7]
	v_and_or_b32 v6, v7, s15, v6
	v_and_or_b32 v10, v11, s15, v10
	v_cmp_ne_u32_e32 vcc, 0, v6
	v_lshrrev_b32_e32 v8, 8, v7
	v_bfe_u32 v12, v7, 20, 11
	v_cndmask_b32_e64 v6, 0, 1, vcc
	v_cmp_ne_u32_e32 vcc, 0, v10
	v_lshrrev_b32_e32 v13, 8, v11
	v_bfe_u32 v14, v11, 20, 11
	v_sub_u32_e32 v15, 0x3f1, v12
	v_cndmask_b32_e64 v10, 0, 1, vcc
	v_and_or_b32 v6, v8, s14, v6
	v_sub_u32_e32 v16, 0x3f1, v14
	v_med3_i32 v8, v15, 0, 13
	v_and_or_b32 v10, v13, s14, v10
	v_or_b32_e32 v15, 0x1000, v6
	v_add_u32_e32 v12, 0xfffffc10, v12
	v_med3_i32 v13, v16, 0, 13
	v_cmp_ne_u32_e32 vcc, 0, v6
	v_or_b32_e32 v17, 0x1000, v10
	v_lshrrev_b32_e32 v19, v8, v15
	v_add_u32_e32 v14, 0xfffffc10, v14
	v_lshl_or_b32 v16, v12, 12, v6
	v_cndmask_b32_e64 v6, 0, 1, vcc
	v_cmp_ne_u32_e32 vcc, 0, v10
	v_lshrrev_b32_e32 v20, v13, v17
	v_lshlrev_b32_e32 v8, v8, v19
	v_lshl_or_b32 v18, v14, 12, v10
	v_cndmask_b32_e64 v10, 0, 1, vcc
	v_lshlrev_b32_e32 v13, v13, v20
	v_cmp_ne_u32_e32 vcc, v8, v15
	v_add_u32_e32 v5, s2, v5
	v_lshl_or_b32 v6, v6, 9, v2
	v_cndmask_b32_e64 v8, 0, 1, vcc
	v_cmp_ne_u32_e32 vcc, v13, v17
	v_or_b32_e32 v8, v19, v8
	v_lshl_or_b32 v10, v10, 9, v2
	v_cndmask_b32_e64 v13, 0, 1, vcc
	v_cmp_gt_i32_e32 vcc, 1, v12
	v_or_b32_e32 v13, v20, v13
	v_and_b32_sdwa v7, v7, s11 dst_sel:DWORD dst_unused:UNUSED_PAD src0_sel:WORD_1 src1_sel:DWORD
	v_cndmask_b32_e32 v8, v16, v8, vcc
	v_cmp_gt_i32_e32 vcc, 1, v14
	v_and_b32_e32 v15, 7, v8
	v_cmp_eq_u32_e64 s[0:1], 3, v15
	v_cndmask_b32_e32 v13, v18, v13, vcc
	v_cmp_lt_i32_e32 vcc, 5, v15
	v_lshrrev_b32_e32 v8, 2, v8
	v_and_b32_e32 v16, 7, v13
	s_or_b64 vcc, s[0:1], vcc
	v_cmp_lt_i32_e64 s[2:3], 5, v16
	v_cmp_eq_u32_e64 s[4:5], 3, v16
	v_addc_co_u32_e32 v8, vcc, 0, v8, vcc
	v_lshrrev_b32_e32 v13, 2, v13
	s_or_b64 vcc, s[4:5], s[2:3]
	v_addc_co_u32_e32 v13, vcc, 0, v13, vcc
	v_cmp_gt_i32_e32 vcc, 31, v12
	v_lshrrev_b32_e32 v11, 16, v11
	s_mul_i32 s2, s9, 0xa4
	v_cndmask_b32_e32 v8, v2, v8, vcc
	v_cmp_gt_i32_e32 vcc, 31, v14
	s_nop 1
	v_cndmask_b32_e32 v13, v2, v13, vcc
	v_cmp_eq_u32_e32 vcc, s10, v12
	s_nop 1
	v_cndmask_b32_e32 v6, v8, v6, vcc
	v_cmp_eq_u32_e32 vcc, s10, v14
	v_bitop3_b32 v6, v7, s16, v6 bitop3:0xc8
	v_mov_b32_e32 v7, 0xa4
	v_cndmask_b32_e32 v8, v13, v10, vcc
	v_and_or_b32 v8, v11, s11, v8
	v_lshl_or_b32 v6, v8, 16, v6
	global_store_dword v[4:5], v6, off
	global_load_dword v6, v3, s[12:13] offset:164
	ds_read2_b32 v[4:5], v9 offset0:41 offset1:55
	s_waitcnt lgkmcnt(0)
	v_lshrrev_b32_e32 v8, 16, v4
	s_waitcnt vmcnt(0)
	v_mul_f16_sdwa v10, v8, v6 dst_sel:DWORD dst_unused:UNUSED_PAD src0_sel:DWORD src1_sel:WORD_1
	v_mul_f16_sdwa v11, v4, v6 dst_sel:DWORD dst_unused:UNUSED_PAD src0_sel:DWORD src1_sel:WORD_1
	v_fma_f16 v4, v4, v6, v10
	v_fma_f16 v6, v6, v8, -v11
	v_cvt_f32_f16_e32 v4, v4
	v_cvt_f32_f16_e32 v8, v6
	v_mad_u64_u32 v[6:7], s[0:1], s8, v7, v[0:1]
	v_cvt_f64_f32_e32 v[10:11], v4
	v_cvt_f64_f32_e32 v[12:13], v8
	v_mul_f64 v[10:11], v[10:11], s[6:7]
	v_mul_f64 v[12:13], v[12:13], s[6:7]
	v_and_or_b32 v4, v11, s15, v10
	v_and_or_b32 v12, v13, s15, v12
	v_cmp_ne_u32_e32 vcc, 0, v4
	v_lshrrev_b32_e32 v8, 8, v11
	v_bfe_u32 v10, v11, 20, 11
	v_cndmask_b32_e64 v4, 0, 1, vcc
	v_cmp_ne_u32_e32 vcc, 0, v12
	v_lshrrev_b32_e32 v14, 8, v13
	v_bfe_u32 v15, v13, 20, 11
	v_sub_u32_e32 v16, 0x3f1, v10
	v_cndmask_b32_e64 v12, 0, 1, vcc
	v_and_or_b32 v4, v8, s14, v4
	v_sub_u32_e32 v17, 0x3f1, v15
	v_med3_i32 v8, v16, 0, 13
	v_and_or_b32 v12, v14, s14, v12
	v_or_b32_e32 v16, 0x1000, v4
	v_add_u32_e32 v10, 0xfffffc10, v10
	v_med3_i32 v14, v17, 0, 13
	v_cmp_ne_u32_e32 vcc, 0, v4
	v_or_b32_e32 v18, 0x1000, v12
	v_lshrrev_b32_e32 v20, v8, v16
	v_add_u32_e32 v15, 0xfffffc10, v15
	v_lshl_or_b32 v17, v10, 12, v4
	v_cndmask_b32_e64 v4, 0, 1, vcc
	v_cmp_ne_u32_e32 vcc, 0, v12
	v_lshrrev_b32_e32 v21, v14, v18
	v_lshlrev_b32_e32 v8, v8, v20
	v_lshl_or_b32 v19, v15, 12, v12
	v_cndmask_b32_e64 v12, 0, 1, vcc
	v_lshlrev_b32_e32 v14, v14, v21
	v_cmp_ne_u32_e32 vcc, v8, v16
	v_add_u32_e32 v7, s2, v7
	v_lshl_or_b32 v4, v4, 9, v2
	v_cndmask_b32_e64 v8, 0, 1, vcc
	v_cmp_ne_u32_e32 vcc, v14, v18
	v_or_b32_e32 v8, v20, v8
	v_lshl_or_b32 v12, v12, 9, v2
	v_cndmask_b32_e64 v14, 0, 1, vcc
	v_cmp_gt_i32_e32 vcc, 1, v10
	v_or_b32_e32 v14, v21, v14
	v_and_b32_sdwa v11, v11, s11 dst_sel:DWORD dst_unused:UNUSED_PAD src0_sel:WORD_1 src1_sel:DWORD
	v_cndmask_b32_e32 v8, v17, v8, vcc
	v_cmp_gt_i32_e32 vcc, 1, v15
	v_and_b32_e32 v16, 7, v8
	v_cmp_eq_u32_e64 s[0:1], 3, v16
	v_cndmask_b32_e32 v14, v19, v14, vcc
	v_cmp_lt_i32_e32 vcc, 5, v16
	v_lshrrev_b32_e32 v8, 2, v8
	v_and_b32_e32 v17, 7, v14
	s_or_b64 vcc, s[0:1], vcc
	v_cmp_lt_i32_e64 s[2:3], 5, v17
	v_cmp_eq_u32_e64 s[4:5], 3, v17
	v_addc_co_u32_e32 v8, vcc, 0, v8, vcc
	v_lshrrev_b32_e32 v14, 2, v14
	s_or_b64 vcc, s[4:5], s[2:3]
	v_addc_co_u32_e32 v14, vcc, 0, v14, vcc
	v_cmp_gt_i32_e32 vcc, 31, v10
	v_lshrrev_b32_e32 v13, 16, v13
	s_mul_i32 s2, s9, 0xdc
	v_cndmask_b32_e32 v8, v2, v8, vcc
	v_cmp_gt_i32_e32 vcc, 31, v15
	s_nop 1
	v_cndmask_b32_e32 v14, v2, v14, vcc
	v_cmp_eq_u32_e32 vcc, s10, v10
	s_nop 1
	v_cndmask_b32_e32 v4, v8, v4, vcc
	v_cmp_eq_u32_e32 vcc, s10, v15
	v_bitop3_b32 v4, v11, s16, v4 bitop3:0xc8
	s_nop 0
	v_cndmask_b32_e32 v8, v14, v12, vcc
	v_and_or_b32 v8, v13, s11, v8
	v_lshl_or_b32 v4, v8, 16, v4
	global_store_dword v[6:7], v4, off
	global_load_dword v4, v3, s[12:13] offset:220
	v_lshrrev_b32_e32 v7, 16, v5
	v_mov_b32_e32 v6, 0xdc
	s_waitcnt vmcnt(0)
	v_mul_f16_sdwa v8, v7, v4 dst_sel:DWORD dst_unused:UNUSED_PAD src0_sel:DWORD src1_sel:WORD_1
	v_mul_f16_sdwa v10, v5, v4 dst_sel:DWORD dst_unused:UNUSED_PAD src0_sel:DWORD src1_sel:WORD_1
	v_fma_f16 v5, v5, v4, v8
	v_fma_f16 v4, v4, v7, -v10
	v_cvt_f32_f16_e32 v7, v5
	v_cvt_f32_f16_e32 v8, v4
	v_mad_u64_u32 v[4:5], s[0:1], s8, v6, v[0:1]
	v_cvt_f64_f32_e32 v[6:7], v7
	v_cvt_f64_f32_e32 v[10:11], v8
	v_mul_f64 v[6:7], v[6:7], s[6:7]
	v_mul_f64 v[10:11], v[10:11], s[6:7]
	v_and_or_b32 v6, v7, s15, v6
	v_and_or_b32 v10, v11, s15, v10
	v_cmp_ne_u32_e32 vcc, 0, v6
	v_lshrrev_b32_e32 v8, 8, v7
	v_bfe_u32 v12, v7, 20, 11
	v_cndmask_b32_e64 v6, 0, 1, vcc
	v_cmp_ne_u32_e32 vcc, 0, v10
	v_lshrrev_b32_e32 v13, 8, v11
	v_bfe_u32 v14, v11, 20, 11
	v_sub_u32_e32 v15, 0x3f1, v12
	v_cndmask_b32_e64 v10, 0, 1, vcc
	v_and_or_b32 v6, v8, s14, v6
	v_sub_u32_e32 v16, 0x3f1, v14
	v_med3_i32 v8, v15, 0, 13
	v_and_or_b32 v10, v13, s14, v10
	v_or_b32_e32 v15, 0x1000, v6
	v_add_u32_e32 v12, 0xfffffc10, v12
	v_med3_i32 v13, v16, 0, 13
	v_cmp_ne_u32_e32 vcc, 0, v6
	v_or_b32_e32 v17, 0x1000, v10
	v_lshrrev_b32_e32 v19, v8, v15
	v_add_u32_e32 v14, 0xfffffc10, v14
	v_lshl_or_b32 v16, v12, 12, v6
	v_cndmask_b32_e64 v6, 0, 1, vcc
	v_cmp_ne_u32_e32 vcc, 0, v10
	v_lshrrev_b32_e32 v20, v13, v17
	v_lshlrev_b32_e32 v8, v8, v19
	v_lshl_or_b32 v18, v14, 12, v10
	v_cndmask_b32_e64 v10, 0, 1, vcc
	v_lshlrev_b32_e32 v13, v13, v20
	v_cmp_ne_u32_e32 vcc, v8, v15
	v_add_u32_e32 v5, s2, v5
	v_lshl_or_b32 v6, v6, 9, v2
	v_cndmask_b32_e64 v8, 0, 1, vcc
	v_cmp_ne_u32_e32 vcc, v13, v17
	v_or_b32_e32 v8, v19, v8
	v_lshl_or_b32 v10, v10, 9, v2
	v_cndmask_b32_e64 v13, 0, 1, vcc
	v_cmp_gt_i32_e32 vcc, 1, v12
	v_or_b32_e32 v13, v20, v13
	v_and_b32_sdwa v7, v7, s11 dst_sel:DWORD dst_unused:UNUSED_PAD src0_sel:WORD_1 src1_sel:DWORD
	v_cndmask_b32_e32 v8, v16, v8, vcc
	v_cmp_gt_i32_e32 vcc, 1, v14
	v_and_b32_e32 v15, 7, v8
	v_cmp_eq_u32_e64 s[0:1], 3, v15
	v_cndmask_b32_e32 v13, v18, v13, vcc
	v_cmp_lt_i32_e32 vcc, 5, v15
	v_lshrrev_b32_e32 v8, 2, v8
	v_and_b32_e32 v16, 7, v13
	s_or_b64 vcc, s[0:1], vcc
	v_cmp_lt_i32_e64 s[2:3], 5, v16
	v_cmp_eq_u32_e64 s[4:5], 3, v16
	v_addc_co_u32_e32 v8, vcc, 0, v8, vcc
	v_lshrrev_b32_e32 v13, 2, v13
	s_or_b64 vcc, s[4:5], s[2:3]
	v_addc_co_u32_e32 v13, vcc, 0, v13, vcc
	v_cmp_gt_i32_e32 vcc, 31, v12
	v_lshrrev_b32_e32 v11, 16, v11
	s_mul_i32 s2, s9, 0x114
	v_cndmask_b32_e32 v8, v2, v8, vcc
	v_cmp_gt_i32_e32 vcc, 31, v14
	s_nop 1
	v_cndmask_b32_e32 v13, v2, v13, vcc
	v_cmp_eq_u32_e32 vcc, s10, v12
	s_nop 1
	v_cndmask_b32_e32 v6, v8, v6, vcc
	v_cmp_eq_u32_e32 vcc, s10, v14
	v_bitop3_b32 v6, v7, s16, v6 bitop3:0xc8
	v_mov_b32_e32 v7, 0x114
	v_cndmask_b32_e32 v8, v13, v10, vcc
	v_and_or_b32 v8, v11, s11, v8
	v_lshl_or_b32 v6, v8, 16, v6
	global_store_dword v[4:5], v6, off
	global_load_dword v6, v3, s[12:13] offset:276
	ds_read2_b32 v[4:5], v9 offset0:69 offset1:83
	s_waitcnt lgkmcnt(0)
	v_lshrrev_b32_e32 v8, 16, v4
	s_waitcnt vmcnt(0)
	v_mul_f16_sdwa v10, v8, v6 dst_sel:DWORD dst_unused:UNUSED_PAD src0_sel:DWORD src1_sel:WORD_1
	v_mul_f16_sdwa v11, v4, v6 dst_sel:DWORD dst_unused:UNUSED_PAD src0_sel:DWORD src1_sel:WORD_1
	v_fma_f16 v4, v4, v6, v10
	v_fma_f16 v6, v6, v8, -v11
	v_cvt_f32_f16_e32 v4, v4
	v_cvt_f32_f16_e32 v8, v6
	v_mad_u64_u32 v[6:7], s[0:1], s8, v7, v[0:1]
	v_cvt_f64_f32_e32 v[10:11], v4
	v_cvt_f64_f32_e32 v[12:13], v8
	v_mul_f64 v[10:11], v[10:11], s[6:7]
	v_mul_f64 v[12:13], v[12:13], s[6:7]
	v_and_or_b32 v4, v11, s15, v10
	v_and_or_b32 v12, v13, s15, v12
	v_cmp_ne_u32_e32 vcc, 0, v4
	v_lshrrev_b32_e32 v8, 8, v11
	v_bfe_u32 v10, v11, 20, 11
	v_cndmask_b32_e64 v4, 0, 1, vcc
	v_cmp_ne_u32_e32 vcc, 0, v12
	v_lshrrev_b32_e32 v14, 8, v13
	v_bfe_u32 v15, v13, 20, 11
	v_sub_u32_e32 v16, 0x3f1, v10
	v_cndmask_b32_e64 v12, 0, 1, vcc
	v_and_or_b32 v4, v8, s14, v4
	v_sub_u32_e32 v17, 0x3f1, v15
	v_med3_i32 v8, v16, 0, 13
	v_and_or_b32 v12, v14, s14, v12
	v_or_b32_e32 v16, 0x1000, v4
	v_add_u32_e32 v10, 0xfffffc10, v10
	v_med3_i32 v14, v17, 0, 13
	v_cmp_ne_u32_e32 vcc, 0, v4
	v_or_b32_e32 v18, 0x1000, v12
	v_lshrrev_b32_e32 v20, v8, v16
	v_add_u32_e32 v15, 0xfffffc10, v15
	v_lshl_or_b32 v17, v10, 12, v4
	v_cndmask_b32_e64 v4, 0, 1, vcc
	v_cmp_ne_u32_e32 vcc, 0, v12
	v_lshrrev_b32_e32 v21, v14, v18
	v_lshlrev_b32_e32 v8, v8, v20
	v_lshl_or_b32 v19, v15, 12, v12
	v_cndmask_b32_e64 v12, 0, 1, vcc
	v_lshlrev_b32_e32 v14, v14, v21
	v_cmp_ne_u32_e32 vcc, v8, v16
	v_add_u32_e32 v7, s2, v7
	v_lshl_or_b32 v4, v4, 9, v2
	v_cndmask_b32_e64 v8, 0, 1, vcc
	v_cmp_ne_u32_e32 vcc, v14, v18
	v_or_b32_e32 v8, v20, v8
	v_lshl_or_b32 v12, v12, 9, v2
	v_cndmask_b32_e64 v14, 0, 1, vcc
	v_cmp_gt_i32_e32 vcc, 1, v10
	v_or_b32_e32 v14, v21, v14
	v_and_b32_sdwa v11, v11, s11 dst_sel:DWORD dst_unused:UNUSED_PAD src0_sel:WORD_1 src1_sel:DWORD
	v_cndmask_b32_e32 v8, v17, v8, vcc
	v_cmp_gt_i32_e32 vcc, 1, v15
	v_and_b32_e32 v16, 7, v8
	v_cmp_eq_u32_e64 s[0:1], 3, v16
	v_cndmask_b32_e32 v14, v19, v14, vcc
	v_cmp_lt_i32_e32 vcc, 5, v16
	v_lshrrev_b32_e32 v8, 2, v8
	v_and_b32_e32 v17, 7, v14
	s_or_b64 vcc, s[0:1], vcc
	v_cmp_lt_i32_e64 s[2:3], 5, v17
	v_cmp_eq_u32_e64 s[4:5], 3, v17
	v_addc_co_u32_e32 v8, vcc, 0, v8, vcc
	v_lshrrev_b32_e32 v14, 2, v14
	s_or_b64 vcc, s[4:5], s[2:3]
	v_addc_co_u32_e32 v14, vcc, 0, v14, vcc
	v_cmp_gt_i32_e32 vcc, 31, v10
	v_lshrrev_b32_e32 v13, 16, v13
	s_mul_i32 s2, s9, 0x14c
	v_cndmask_b32_e32 v8, v2, v8, vcc
	v_cmp_gt_i32_e32 vcc, 31, v15
	s_nop 1
	v_cndmask_b32_e32 v14, v2, v14, vcc
	v_cmp_eq_u32_e32 vcc, s10, v10
	s_nop 1
	v_cndmask_b32_e32 v4, v8, v4, vcc
	v_cmp_eq_u32_e32 vcc, s10, v15
	v_bitop3_b32 v4, v11, s16, v4 bitop3:0xc8
	s_nop 0
	v_cndmask_b32_e32 v8, v14, v12, vcc
	v_and_or_b32 v8, v13, s11, v8
	v_lshl_or_b32 v4, v8, 16, v4
	global_store_dword v[6:7], v4, off
	global_load_dword v4, v3, s[12:13] offset:332
	v_lshrrev_b32_e32 v7, 16, v5
	v_mov_b32_e32 v6, 0x14c
	s_waitcnt vmcnt(0)
	v_mul_f16_sdwa v8, v7, v4 dst_sel:DWORD dst_unused:UNUSED_PAD src0_sel:DWORD src1_sel:WORD_1
	v_mul_f16_sdwa v10, v5, v4 dst_sel:DWORD dst_unused:UNUSED_PAD src0_sel:DWORD src1_sel:WORD_1
	v_fma_f16 v5, v5, v4, v8
	v_fma_f16 v4, v4, v7, -v10
	v_cvt_f32_f16_e32 v7, v5
	v_cvt_f32_f16_e32 v8, v4
	v_mad_u64_u32 v[4:5], s[0:1], s8, v6, v[0:1]
	v_cvt_f64_f32_e32 v[6:7], v7
	v_cvt_f64_f32_e32 v[10:11], v8
	v_mul_f64 v[6:7], v[6:7], s[6:7]
	v_mul_f64 v[10:11], v[10:11], s[6:7]
	v_and_or_b32 v6, v7, s15, v6
	v_and_or_b32 v10, v11, s15, v10
	v_cmp_ne_u32_e32 vcc, 0, v6
	v_lshrrev_b32_e32 v8, 8, v7
	v_bfe_u32 v12, v7, 20, 11
	v_cndmask_b32_e64 v6, 0, 1, vcc
	v_cmp_ne_u32_e32 vcc, 0, v10
	v_lshrrev_b32_e32 v13, 8, v11
	v_bfe_u32 v14, v11, 20, 11
	v_sub_u32_e32 v15, 0x3f1, v12
	v_cndmask_b32_e64 v10, 0, 1, vcc
	v_and_or_b32 v6, v8, s14, v6
	v_sub_u32_e32 v16, 0x3f1, v14
	v_med3_i32 v8, v15, 0, 13
	v_and_or_b32 v10, v13, s14, v10
	v_or_b32_e32 v15, 0x1000, v6
	v_add_u32_e32 v12, 0xfffffc10, v12
	v_med3_i32 v13, v16, 0, 13
	v_cmp_ne_u32_e32 vcc, 0, v6
	v_or_b32_e32 v17, 0x1000, v10
	v_lshrrev_b32_e32 v19, v8, v15
	v_add_u32_e32 v14, 0xfffffc10, v14
	v_lshl_or_b32 v16, v12, 12, v6
	v_cndmask_b32_e64 v6, 0, 1, vcc
	v_cmp_ne_u32_e32 vcc, 0, v10
	v_lshrrev_b32_e32 v20, v13, v17
	v_lshlrev_b32_e32 v8, v8, v19
	v_lshl_or_b32 v18, v14, 12, v10
	v_cndmask_b32_e64 v10, 0, 1, vcc
	v_lshlrev_b32_e32 v13, v13, v20
	v_cmp_ne_u32_e32 vcc, v8, v15
	v_add_u32_e32 v5, s2, v5
	v_lshl_or_b32 v6, v6, 9, v2
	v_cndmask_b32_e64 v8, 0, 1, vcc
	v_cmp_ne_u32_e32 vcc, v13, v17
	v_or_b32_e32 v8, v19, v8
	v_lshl_or_b32 v10, v10, 9, v2
	v_cndmask_b32_e64 v13, 0, 1, vcc
	v_cmp_gt_i32_e32 vcc, 1, v12
	v_or_b32_e32 v13, v20, v13
	v_and_b32_sdwa v7, v7, s11 dst_sel:DWORD dst_unused:UNUSED_PAD src0_sel:WORD_1 src1_sel:DWORD
	v_cndmask_b32_e32 v8, v16, v8, vcc
	v_cmp_gt_i32_e32 vcc, 1, v14
	v_and_b32_e32 v15, 7, v8
	v_cmp_eq_u32_e64 s[0:1], 3, v15
	v_cndmask_b32_e32 v13, v18, v13, vcc
	v_cmp_lt_i32_e32 vcc, 5, v15
	v_lshrrev_b32_e32 v8, 2, v8
	v_and_b32_e32 v16, 7, v13
	s_or_b64 vcc, s[0:1], vcc
	v_cmp_lt_i32_e64 s[2:3], 5, v16
	v_cmp_eq_u32_e64 s[4:5], 3, v16
	v_addc_co_u32_e32 v8, vcc, 0, v8, vcc
	v_lshrrev_b32_e32 v13, 2, v13
	s_or_b64 vcc, s[4:5], s[2:3]
	v_addc_co_u32_e32 v13, vcc, 0, v13, vcc
	v_cmp_gt_i32_e32 vcc, 31, v12
	v_lshrrev_b32_e32 v11, 16, v11
	s_mul_i32 s2, s9, 0x184
	v_cndmask_b32_e32 v8, v2, v8, vcc
	v_cmp_gt_i32_e32 vcc, 31, v14
	s_nop 1
	v_cndmask_b32_e32 v13, v2, v13, vcc
	v_cmp_eq_u32_e32 vcc, s10, v12
	s_nop 1
	v_cndmask_b32_e32 v6, v8, v6, vcc
	v_cmp_eq_u32_e32 vcc, s10, v14
	v_bitop3_b32 v6, v7, s16, v6 bitop3:0xc8
	v_mov_b32_e32 v7, 0x184
	v_cndmask_b32_e32 v8, v13, v10, vcc
	v_and_or_b32 v8, v11, s11, v8
	v_lshl_or_b32 v6, v8, 16, v6
	global_store_dword v[4:5], v6, off
	global_load_dword v6, v3, s[12:13] offset:388
	ds_read2_b32 v[4:5], v9 offset0:97 offset1:111
	s_waitcnt lgkmcnt(0)
	v_lshrrev_b32_e32 v8, 16, v4
	s_waitcnt vmcnt(0)
	v_mul_f16_sdwa v10, v8, v6 dst_sel:DWORD dst_unused:UNUSED_PAD src0_sel:DWORD src1_sel:WORD_1
	v_mul_f16_sdwa v11, v4, v6 dst_sel:DWORD dst_unused:UNUSED_PAD src0_sel:DWORD src1_sel:WORD_1
	v_fma_f16 v4, v4, v6, v10
	v_fma_f16 v6, v6, v8, -v11
	v_cvt_f32_f16_e32 v4, v4
	v_cvt_f32_f16_e32 v8, v6
	v_mad_u64_u32 v[6:7], s[0:1], s8, v7, v[0:1]
	v_cvt_f64_f32_e32 v[10:11], v4
	v_cvt_f64_f32_e32 v[12:13], v8
	v_mul_f64 v[10:11], v[10:11], s[6:7]
	v_mul_f64 v[12:13], v[12:13], s[6:7]
	v_and_or_b32 v4, v11, s15, v10
	v_and_or_b32 v12, v13, s15, v12
	v_cmp_ne_u32_e32 vcc, 0, v4
	v_lshrrev_b32_e32 v8, 8, v11
	v_bfe_u32 v10, v11, 20, 11
	v_cndmask_b32_e64 v4, 0, 1, vcc
	v_cmp_ne_u32_e32 vcc, 0, v12
	v_lshrrev_b32_e32 v14, 8, v13
	v_bfe_u32 v15, v13, 20, 11
	v_sub_u32_e32 v16, 0x3f1, v10
	v_cndmask_b32_e64 v12, 0, 1, vcc
	v_and_or_b32 v4, v8, s14, v4
	v_sub_u32_e32 v17, 0x3f1, v15
	v_med3_i32 v8, v16, 0, 13
	v_and_or_b32 v12, v14, s14, v12
	v_or_b32_e32 v16, 0x1000, v4
	v_add_u32_e32 v10, 0xfffffc10, v10
	v_med3_i32 v14, v17, 0, 13
	v_cmp_ne_u32_e32 vcc, 0, v4
	v_or_b32_e32 v18, 0x1000, v12
	v_lshrrev_b32_e32 v20, v8, v16
	v_add_u32_e32 v15, 0xfffffc10, v15
	v_lshl_or_b32 v17, v10, 12, v4
	v_cndmask_b32_e64 v4, 0, 1, vcc
	v_cmp_ne_u32_e32 vcc, 0, v12
	v_lshrrev_b32_e32 v21, v14, v18
	v_lshlrev_b32_e32 v8, v8, v20
	v_lshl_or_b32 v19, v15, 12, v12
	v_cndmask_b32_e64 v12, 0, 1, vcc
	v_lshlrev_b32_e32 v14, v14, v21
	v_cmp_ne_u32_e32 vcc, v8, v16
	v_add_u32_e32 v7, s2, v7
	v_lshl_or_b32 v4, v4, 9, v2
	v_cndmask_b32_e64 v8, 0, 1, vcc
	v_cmp_ne_u32_e32 vcc, v14, v18
	v_or_b32_e32 v8, v20, v8
	v_lshl_or_b32 v12, v12, 9, v2
	v_cndmask_b32_e64 v14, 0, 1, vcc
	v_cmp_gt_i32_e32 vcc, 1, v10
	v_or_b32_e32 v14, v21, v14
	v_and_b32_sdwa v11, v11, s11 dst_sel:DWORD dst_unused:UNUSED_PAD src0_sel:WORD_1 src1_sel:DWORD
	v_cndmask_b32_e32 v8, v17, v8, vcc
	v_cmp_gt_i32_e32 vcc, 1, v15
	v_and_b32_e32 v16, 7, v8
	v_cmp_eq_u32_e64 s[0:1], 3, v16
	v_cndmask_b32_e32 v14, v19, v14, vcc
	v_cmp_lt_i32_e32 vcc, 5, v16
	v_lshrrev_b32_e32 v8, 2, v8
	v_and_b32_e32 v17, 7, v14
	s_or_b64 vcc, s[0:1], vcc
	v_cmp_lt_i32_e64 s[2:3], 5, v17
	v_cmp_eq_u32_e64 s[4:5], 3, v17
	v_addc_co_u32_e32 v8, vcc, 0, v8, vcc
	v_lshrrev_b32_e32 v14, 2, v14
	s_or_b64 vcc, s[4:5], s[2:3]
	v_addc_co_u32_e32 v14, vcc, 0, v14, vcc
	v_cmp_gt_i32_e32 vcc, 31, v10
	v_lshrrev_b32_e32 v13, 16, v13
	s_mul_i32 s2, s9, 0x1bc
	v_cndmask_b32_e32 v8, v2, v8, vcc
	v_cmp_gt_i32_e32 vcc, 31, v15
	s_nop 1
	v_cndmask_b32_e32 v14, v2, v14, vcc
	v_cmp_eq_u32_e32 vcc, s10, v10
	s_nop 1
	v_cndmask_b32_e32 v4, v8, v4, vcc
	v_cmp_eq_u32_e32 vcc, s10, v15
	v_bitop3_b32 v4, v11, s16, v4 bitop3:0xc8
	s_nop 0
	v_cndmask_b32_e32 v8, v14, v12, vcc
	v_and_or_b32 v8, v13, s11, v8
	v_lshl_or_b32 v4, v8, 16, v4
	global_store_dword v[6:7], v4, off
	global_load_dword v4, v3, s[12:13] offset:444
	v_lshrrev_b32_e32 v7, 16, v5
	v_mov_b32_e32 v6, 0x1bc
	s_waitcnt vmcnt(0)
	v_mul_f16_sdwa v8, v7, v4 dst_sel:DWORD dst_unused:UNUSED_PAD src0_sel:DWORD src1_sel:WORD_1
	v_mul_f16_sdwa v10, v5, v4 dst_sel:DWORD dst_unused:UNUSED_PAD src0_sel:DWORD src1_sel:WORD_1
	v_fma_f16 v5, v5, v4, v8
	v_fma_f16 v4, v4, v7, -v10
	v_cvt_f32_f16_e32 v7, v5
	v_cvt_f32_f16_e32 v8, v4
	v_mad_u64_u32 v[4:5], s[0:1], s8, v6, v[0:1]
	v_cvt_f64_f32_e32 v[6:7], v7
	v_cvt_f64_f32_e32 v[10:11], v8
	v_mul_f64 v[6:7], v[6:7], s[6:7]
	v_mul_f64 v[10:11], v[10:11], s[6:7]
	v_and_or_b32 v6, v7, s15, v6
	v_and_or_b32 v10, v11, s15, v10
	v_cmp_ne_u32_e32 vcc, 0, v6
	v_lshrrev_b32_e32 v8, 8, v7
	v_bfe_u32 v12, v7, 20, 11
	v_cndmask_b32_e64 v6, 0, 1, vcc
	v_cmp_ne_u32_e32 vcc, 0, v10
	v_lshrrev_b32_e32 v13, 8, v11
	v_bfe_u32 v14, v11, 20, 11
	v_sub_u32_e32 v15, 0x3f1, v12
	v_cndmask_b32_e64 v10, 0, 1, vcc
	v_and_or_b32 v6, v8, s14, v6
	v_sub_u32_e32 v16, 0x3f1, v14
	v_med3_i32 v8, v15, 0, 13
	v_and_or_b32 v10, v13, s14, v10
	v_or_b32_e32 v15, 0x1000, v6
	v_add_u32_e32 v12, 0xfffffc10, v12
	v_med3_i32 v13, v16, 0, 13
	v_cmp_ne_u32_e32 vcc, 0, v6
	v_or_b32_e32 v17, 0x1000, v10
	v_lshrrev_b32_e32 v19, v8, v15
	v_add_u32_e32 v14, 0xfffffc10, v14
	v_lshl_or_b32 v16, v12, 12, v6
	v_cndmask_b32_e64 v6, 0, 1, vcc
	v_cmp_ne_u32_e32 vcc, 0, v10
	v_lshrrev_b32_e32 v20, v13, v17
	v_lshlrev_b32_e32 v8, v8, v19
	v_lshl_or_b32 v18, v14, 12, v10
	v_cndmask_b32_e64 v10, 0, 1, vcc
	v_lshlrev_b32_e32 v13, v13, v20
	v_cmp_ne_u32_e32 vcc, v8, v15
	v_add_u32_e32 v5, s2, v5
	v_lshl_or_b32 v6, v6, 9, v2
	v_cndmask_b32_e64 v8, 0, 1, vcc
	v_cmp_ne_u32_e32 vcc, v13, v17
	v_or_b32_e32 v8, v19, v8
	v_lshl_or_b32 v10, v10, 9, v2
	v_cndmask_b32_e64 v13, 0, 1, vcc
	v_cmp_gt_i32_e32 vcc, 1, v12
	v_or_b32_e32 v13, v20, v13
	v_and_b32_sdwa v7, v7, s11 dst_sel:DWORD dst_unused:UNUSED_PAD src0_sel:WORD_1 src1_sel:DWORD
	v_cndmask_b32_e32 v8, v16, v8, vcc
	v_cmp_gt_i32_e32 vcc, 1, v14
	v_and_b32_e32 v15, 7, v8
	v_cmp_eq_u32_e64 s[0:1], 3, v15
	v_cndmask_b32_e32 v13, v18, v13, vcc
	v_cmp_lt_i32_e32 vcc, 5, v15
	v_lshrrev_b32_e32 v8, 2, v8
	v_and_b32_e32 v16, 7, v13
	s_or_b64 vcc, s[0:1], vcc
	v_cmp_lt_i32_e64 s[2:3], 5, v16
	v_cmp_eq_u32_e64 s[4:5], 3, v16
	v_addc_co_u32_e32 v8, vcc, 0, v8, vcc
	v_lshrrev_b32_e32 v13, 2, v13
	s_or_b64 vcc, s[4:5], s[2:3]
	v_addc_co_u32_e32 v13, vcc, 0, v13, vcc
	v_cmp_gt_i32_e32 vcc, 31, v12
	v_lshrrev_b32_e32 v11, 16, v11
	s_mul_i32 s2, s9, 0x1f4
	v_cndmask_b32_e32 v8, v2, v8, vcc
	v_cmp_gt_i32_e32 vcc, 31, v14
	s_nop 1
	v_cndmask_b32_e32 v13, v2, v13, vcc
	v_cmp_eq_u32_e32 vcc, s10, v12
	s_nop 1
	v_cndmask_b32_e32 v6, v8, v6, vcc
	v_cmp_eq_u32_e32 vcc, s10, v14
	v_bitop3_b32 v6, v7, s16, v6 bitop3:0xc8
	v_mov_b32_e32 v7, 0x1f4
	v_cndmask_b32_e32 v8, v13, v10, vcc
	v_and_or_b32 v8, v11, s11, v8
	v_lshl_or_b32 v6, v8, 16, v6
	global_store_dword v[4:5], v6, off
	global_load_dword v6, v3, s[12:13] offset:500
	ds_read2_b32 v[4:5], v9 offset0:125 offset1:139
	s_waitcnt lgkmcnt(0)
	v_lshrrev_b32_e32 v8, 16, v4
	s_waitcnt vmcnt(0)
	v_mul_f16_sdwa v10, v8, v6 dst_sel:DWORD dst_unused:UNUSED_PAD src0_sel:DWORD src1_sel:WORD_1
	v_mul_f16_sdwa v11, v4, v6 dst_sel:DWORD dst_unused:UNUSED_PAD src0_sel:DWORD src1_sel:WORD_1
	v_fma_f16 v4, v4, v6, v10
	v_fma_f16 v6, v6, v8, -v11
	v_cvt_f32_f16_e32 v4, v4
	v_cvt_f32_f16_e32 v8, v6
	v_mad_u64_u32 v[6:7], s[0:1], s8, v7, v[0:1]
	v_cvt_f64_f32_e32 v[10:11], v4
	v_cvt_f64_f32_e32 v[12:13], v8
	v_mul_f64 v[10:11], v[10:11], s[6:7]
	v_mul_f64 v[12:13], v[12:13], s[6:7]
	v_and_or_b32 v4, v11, s15, v10
	v_and_or_b32 v12, v13, s15, v12
	v_cmp_ne_u32_e32 vcc, 0, v4
	v_lshrrev_b32_e32 v8, 8, v11
	v_bfe_u32 v10, v11, 20, 11
	v_cndmask_b32_e64 v4, 0, 1, vcc
	v_cmp_ne_u32_e32 vcc, 0, v12
	v_lshrrev_b32_e32 v14, 8, v13
	v_bfe_u32 v15, v13, 20, 11
	v_sub_u32_e32 v16, 0x3f1, v10
	v_cndmask_b32_e64 v12, 0, 1, vcc
	v_and_or_b32 v4, v8, s14, v4
	v_sub_u32_e32 v17, 0x3f1, v15
	v_med3_i32 v8, v16, 0, 13
	v_and_or_b32 v12, v14, s14, v12
	v_or_b32_e32 v16, 0x1000, v4
	v_add_u32_e32 v10, 0xfffffc10, v10
	v_med3_i32 v14, v17, 0, 13
	v_cmp_ne_u32_e32 vcc, 0, v4
	v_or_b32_e32 v18, 0x1000, v12
	v_lshrrev_b32_e32 v20, v8, v16
	v_add_u32_e32 v15, 0xfffffc10, v15
	v_lshl_or_b32 v17, v10, 12, v4
	v_cndmask_b32_e64 v4, 0, 1, vcc
	v_cmp_ne_u32_e32 vcc, 0, v12
	v_lshrrev_b32_e32 v21, v14, v18
	v_lshlrev_b32_e32 v8, v8, v20
	v_lshl_or_b32 v19, v15, 12, v12
	v_cndmask_b32_e64 v12, 0, 1, vcc
	v_lshlrev_b32_e32 v14, v14, v21
	v_cmp_ne_u32_e32 vcc, v8, v16
	v_add_u32_e32 v7, s2, v7
	v_lshl_or_b32 v4, v4, 9, v2
	v_cndmask_b32_e64 v8, 0, 1, vcc
	v_cmp_ne_u32_e32 vcc, v14, v18
	v_or_b32_e32 v8, v20, v8
	v_lshl_or_b32 v12, v12, 9, v2
	v_cndmask_b32_e64 v14, 0, 1, vcc
	v_cmp_gt_i32_e32 vcc, 1, v10
	v_or_b32_e32 v14, v21, v14
	v_and_b32_sdwa v11, v11, s11 dst_sel:DWORD dst_unused:UNUSED_PAD src0_sel:WORD_1 src1_sel:DWORD
	v_cndmask_b32_e32 v8, v17, v8, vcc
	v_cmp_gt_i32_e32 vcc, 1, v15
	v_and_b32_e32 v16, 7, v8
	v_cmp_eq_u32_e64 s[0:1], 3, v16
	v_cndmask_b32_e32 v14, v19, v14, vcc
	v_cmp_lt_i32_e32 vcc, 5, v16
	v_lshrrev_b32_e32 v8, 2, v8
	v_and_b32_e32 v17, 7, v14
	s_or_b64 vcc, s[0:1], vcc
	v_cmp_lt_i32_e64 s[2:3], 5, v17
	v_cmp_eq_u32_e64 s[4:5], 3, v17
	v_addc_co_u32_e32 v8, vcc, 0, v8, vcc
	v_lshrrev_b32_e32 v14, 2, v14
	s_or_b64 vcc, s[4:5], s[2:3]
	v_addc_co_u32_e32 v14, vcc, 0, v14, vcc
	v_cmp_gt_i32_e32 vcc, 31, v10
	v_lshrrev_b32_e32 v13, 16, v13
	s_mul_i32 s2, s9, 0x22c
	v_cndmask_b32_e32 v8, v2, v8, vcc
	v_cmp_gt_i32_e32 vcc, 31, v15
	s_nop 1
	v_cndmask_b32_e32 v14, v2, v14, vcc
	v_cmp_eq_u32_e32 vcc, s10, v10
	s_nop 1
	v_cndmask_b32_e32 v4, v8, v4, vcc
	v_cmp_eq_u32_e32 vcc, s10, v15
	v_bitop3_b32 v4, v11, s16, v4 bitop3:0xc8
	s_nop 0
	v_cndmask_b32_e32 v8, v14, v12, vcc
	v_and_or_b32 v8, v13, s11, v8
	v_lshl_or_b32 v4, v8, 16, v4
	global_store_dword v[6:7], v4, off
	global_load_dword v4, v3, s[12:13] offset:556
	v_lshrrev_b32_e32 v7, 16, v5
	v_mov_b32_e32 v6, 0x22c
	s_waitcnt vmcnt(0)
	v_mul_f16_sdwa v8, v7, v4 dst_sel:DWORD dst_unused:UNUSED_PAD src0_sel:DWORD src1_sel:WORD_1
	v_mul_f16_sdwa v10, v5, v4 dst_sel:DWORD dst_unused:UNUSED_PAD src0_sel:DWORD src1_sel:WORD_1
	v_fma_f16 v5, v5, v4, v8
	v_fma_f16 v4, v4, v7, -v10
	v_cvt_f32_f16_e32 v7, v5
	v_cvt_f32_f16_e32 v8, v4
	v_mad_u64_u32 v[4:5], s[0:1], s8, v6, v[0:1]
	v_cvt_f64_f32_e32 v[6:7], v7
	v_cvt_f64_f32_e32 v[10:11], v8
	v_mul_f64 v[6:7], v[6:7], s[6:7]
	v_mul_f64 v[10:11], v[10:11], s[6:7]
	v_and_or_b32 v6, v7, s15, v6
	v_and_or_b32 v10, v11, s15, v10
	v_cmp_ne_u32_e32 vcc, 0, v6
	v_lshrrev_b32_e32 v8, 8, v7
	v_bfe_u32 v12, v7, 20, 11
	v_cndmask_b32_e64 v6, 0, 1, vcc
	v_cmp_ne_u32_e32 vcc, 0, v10
	v_lshrrev_b32_e32 v13, 8, v11
	v_bfe_u32 v14, v11, 20, 11
	v_sub_u32_e32 v15, 0x3f1, v12
	v_cndmask_b32_e64 v10, 0, 1, vcc
	v_and_or_b32 v6, v8, s14, v6
	v_sub_u32_e32 v16, 0x3f1, v14
	v_med3_i32 v8, v15, 0, 13
	v_and_or_b32 v10, v13, s14, v10
	v_or_b32_e32 v15, 0x1000, v6
	v_add_u32_e32 v12, 0xfffffc10, v12
	v_med3_i32 v13, v16, 0, 13
	v_cmp_ne_u32_e32 vcc, 0, v6
	v_or_b32_e32 v17, 0x1000, v10
	v_lshrrev_b32_e32 v19, v8, v15
	v_add_u32_e32 v14, 0xfffffc10, v14
	v_lshl_or_b32 v16, v12, 12, v6
	v_cndmask_b32_e64 v6, 0, 1, vcc
	v_cmp_ne_u32_e32 vcc, 0, v10
	v_lshrrev_b32_e32 v20, v13, v17
	v_lshlrev_b32_e32 v8, v8, v19
	v_lshl_or_b32 v18, v14, 12, v10
	v_cndmask_b32_e64 v10, 0, 1, vcc
	v_lshlrev_b32_e32 v13, v13, v20
	v_cmp_ne_u32_e32 vcc, v8, v15
	v_add_u32_e32 v5, s2, v5
	v_lshl_or_b32 v6, v6, 9, v2
	v_cndmask_b32_e64 v8, 0, 1, vcc
	v_cmp_ne_u32_e32 vcc, v13, v17
	v_or_b32_e32 v8, v19, v8
	v_lshl_or_b32 v10, v10, 9, v2
	v_cndmask_b32_e64 v13, 0, 1, vcc
	v_cmp_gt_i32_e32 vcc, 1, v12
	v_or_b32_e32 v13, v20, v13
	v_and_b32_sdwa v7, v7, s11 dst_sel:DWORD dst_unused:UNUSED_PAD src0_sel:WORD_1 src1_sel:DWORD
	v_cndmask_b32_e32 v8, v16, v8, vcc
	v_cmp_gt_i32_e32 vcc, 1, v14
	v_and_b32_e32 v15, 7, v8
	v_cmp_eq_u32_e64 s[0:1], 3, v15
	v_cndmask_b32_e32 v13, v18, v13, vcc
	v_cmp_lt_i32_e32 vcc, 5, v15
	v_lshrrev_b32_e32 v8, 2, v8
	v_and_b32_e32 v16, 7, v13
	s_or_b64 vcc, s[0:1], vcc
	v_cmp_lt_i32_e64 s[2:3], 5, v16
	v_cmp_eq_u32_e64 s[4:5], 3, v16
	v_addc_co_u32_e32 v8, vcc, 0, v8, vcc
	v_lshrrev_b32_e32 v13, 2, v13
	s_or_b64 vcc, s[4:5], s[2:3]
	v_addc_co_u32_e32 v13, vcc, 0, v13, vcc
	v_cmp_gt_i32_e32 vcc, 31, v12
	v_lshrrev_b32_e32 v11, 16, v11
	s_mul_i32 s2, s9, 0x264
	v_cndmask_b32_e32 v8, v2, v8, vcc
	v_cmp_gt_i32_e32 vcc, 31, v14
	s_nop 1
	v_cndmask_b32_e32 v13, v2, v13, vcc
	v_cmp_eq_u32_e32 vcc, s10, v12
	s_nop 1
	v_cndmask_b32_e32 v6, v8, v6, vcc
	v_cmp_eq_u32_e32 vcc, s10, v14
	v_bitop3_b32 v6, v7, s16, v6 bitop3:0xc8
	v_mov_b32_e32 v7, 0x264
	v_cndmask_b32_e32 v8, v13, v10, vcc
	v_and_or_b32 v8, v11, s11, v8
	v_lshl_or_b32 v6, v8, 16, v6
	global_store_dword v[4:5], v6, off
	global_load_dword v6, v3, s[12:13] offset:612
	ds_read2_b32 v[4:5], v9 offset0:153 offset1:167
	s_waitcnt lgkmcnt(0)
	v_lshrrev_b32_e32 v8, 16, v4
	s_waitcnt vmcnt(0)
	v_mul_f16_sdwa v10, v8, v6 dst_sel:DWORD dst_unused:UNUSED_PAD src0_sel:DWORD src1_sel:WORD_1
	v_mul_f16_sdwa v11, v4, v6 dst_sel:DWORD dst_unused:UNUSED_PAD src0_sel:DWORD src1_sel:WORD_1
	v_fma_f16 v4, v4, v6, v10
	v_fma_f16 v6, v6, v8, -v11
	v_cvt_f32_f16_e32 v4, v4
	v_cvt_f32_f16_e32 v8, v6
	v_mad_u64_u32 v[6:7], s[0:1], s8, v7, v[0:1]
	v_cvt_f64_f32_e32 v[10:11], v4
	v_cvt_f64_f32_e32 v[12:13], v8
	v_mul_f64 v[10:11], v[10:11], s[6:7]
	v_mul_f64 v[12:13], v[12:13], s[6:7]
	v_and_or_b32 v4, v11, s15, v10
	v_and_or_b32 v12, v13, s15, v12
	v_cmp_ne_u32_e32 vcc, 0, v4
	v_lshrrev_b32_e32 v8, 8, v11
	v_bfe_u32 v10, v11, 20, 11
	v_cndmask_b32_e64 v4, 0, 1, vcc
	v_cmp_ne_u32_e32 vcc, 0, v12
	v_lshrrev_b32_e32 v14, 8, v13
	v_bfe_u32 v15, v13, 20, 11
	v_sub_u32_e32 v16, 0x3f1, v10
	v_cndmask_b32_e64 v12, 0, 1, vcc
	v_and_or_b32 v4, v8, s14, v4
	v_sub_u32_e32 v17, 0x3f1, v15
	v_med3_i32 v8, v16, 0, 13
	v_and_or_b32 v12, v14, s14, v12
	v_or_b32_e32 v16, 0x1000, v4
	v_add_u32_e32 v10, 0xfffffc10, v10
	v_med3_i32 v14, v17, 0, 13
	v_cmp_ne_u32_e32 vcc, 0, v4
	v_or_b32_e32 v18, 0x1000, v12
	v_lshrrev_b32_e32 v20, v8, v16
	v_add_u32_e32 v15, 0xfffffc10, v15
	v_lshl_or_b32 v17, v10, 12, v4
	v_cndmask_b32_e64 v4, 0, 1, vcc
	v_cmp_ne_u32_e32 vcc, 0, v12
	v_lshrrev_b32_e32 v21, v14, v18
	v_lshlrev_b32_e32 v8, v8, v20
	v_lshl_or_b32 v19, v15, 12, v12
	v_cndmask_b32_e64 v12, 0, 1, vcc
	v_lshlrev_b32_e32 v14, v14, v21
	v_cmp_ne_u32_e32 vcc, v8, v16
	v_add_u32_e32 v7, s2, v7
	v_lshl_or_b32 v4, v4, 9, v2
	v_cndmask_b32_e64 v8, 0, 1, vcc
	v_cmp_ne_u32_e32 vcc, v14, v18
	v_or_b32_e32 v8, v20, v8
	v_lshl_or_b32 v12, v12, 9, v2
	v_cndmask_b32_e64 v14, 0, 1, vcc
	v_cmp_gt_i32_e32 vcc, 1, v10
	v_or_b32_e32 v14, v21, v14
	v_and_b32_sdwa v11, v11, s11 dst_sel:DWORD dst_unused:UNUSED_PAD src0_sel:WORD_1 src1_sel:DWORD
	v_cndmask_b32_e32 v8, v17, v8, vcc
	v_cmp_gt_i32_e32 vcc, 1, v15
	v_and_b32_e32 v16, 7, v8
	v_cmp_eq_u32_e64 s[0:1], 3, v16
	v_cndmask_b32_e32 v14, v19, v14, vcc
	v_cmp_lt_i32_e32 vcc, 5, v16
	v_lshrrev_b32_e32 v8, 2, v8
	v_and_b32_e32 v17, 7, v14
	s_or_b64 vcc, s[0:1], vcc
	v_cmp_lt_i32_e64 s[2:3], 5, v17
	v_cmp_eq_u32_e64 s[4:5], 3, v17
	v_addc_co_u32_e32 v8, vcc, 0, v8, vcc
	v_lshrrev_b32_e32 v14, 2, v14
	s_or_b64 vcc, s[4:5], s[2:3]
	v_addc_co_u32_e32 v14, vcc, 0, v14, vcc
	v_cmp_gt_i32_e32 vcc, 31, v10
	v_lshrrev_b32_e32 v13, 16, v13
	s_mul_i32 s2, s9, 0x29c
	v_cndmask_b32_e32 v8, v2, v8, vcc
	v_cmp_gt_i32_e32 vcc, 31, v15
	s_mulk_i32 s9, 0x2d4
	s_nop 0
	v_cndmask_b32_e32 v14, v2, v14, vcc
	v_cmp_eq_u32_e32 vcc, s10, v10
	s_nop 1
	v_cndmask_b32_e32 v4, v8, v4, vcc
	v_cmp_eq_u32_e32 vcc, s10, v15
	v_bitop3_b32 v4, v11, s16, v4 bitop3:0xc8
	s_nop 0
	v_cndmask_b32_e32 v8, v14, v12, vcc
	v_and_or_b32 v8, v13, s11, v8
	v_lshl_or_b32 v4, v8, 16, v4
	global_store_dword v[6:7], v4, off
	global_load_dword v4, v3, s[12:13] offset:668
	v_lshrrev_b32_e32 v7, 16, v5
	v_mov_b32_e32 v6, 0x29c
	s_waitcnt vmcnt(0)
	v_mul_f16_sdwa v8, v7, v4 dst_sel:DWORD dst_unused:UNUSED_PAD src0_sel:DWORD src1_sel:WORD_1
	v_mul_f16_sdwa v10, v5, v4 dst_sel:DWORD dst_unused:UNUSED_PAD src0_sel:DWORD src1_sel:WORD_1
	v_fma_f16 v5, v5, v4, v8
	v_fma_f16 v4, v4, v7, -v10
	v_cvt_f32_f16_e32 v7, v5
	v_cvt_f32_f16_e32 v8, v4
	v_mad_u64_u32 v[4:5], s[0:1], s8, v6, v[0:1]
	v_cvt_f64_f32_e32 v[6:7], v7
	v_cvt_f64_f32_e32 v[10:11], v8
	v_mul_f64 v[6:7], v[6:7], s[6:7]
	v_mul_f64 v[10:11], v[10:11], s[6:7]
	v_and_or_b32 v6, v7, s15, v6
	v_and_or_b32 v10, v11, s15, v10
	v_cmp_ne_u32_e32 vcc, 0, v6
	v_lshrrev_b32_e32 v8, 8, v7
	v_bfe_u32 v12, v7, 20, 11
	v_cndmask_b32_e64 v6, 0, 1, vcc
	v_cmp_ne_u32_e32 vcc, 0, v10
	v_lshrrev_b32_e32 v13, 8, v11
	v_bfe_u32 v14, v11, 20, 11
	v_sub_u32_e32 v15, 0x3f1, v12
	v_cndmask_b32_e64 v10, 0, 1, vcc
	v_and_or_b32 v6, v8, s14, v6
	v_sub_u32_e32 v16, 0x3f1, v14
	v_med3_i32 v8, v15, 0, 13
	v_and_or_b32 v10, v13, s14, v10
	v_or_b32_e32 v15, 0x1000, v6
	v_add_u32_e32 v12, 0xfffffc10, v12
	v_med3_i32 v13, v16, 0, 13
	v_cmp_ne_u32_e32 vcc, 0, v6
	v_or_b32_e32 v17, 0x1000, v10
	v_lshrrev_b32_e32 v19, v8, v15
	v_add_u32_e32 v14, 0xfffffc10, v14
	v_lshl_or_b32 v16, v12, 12, v6
	v_cndmask_b32_e64 v6, 0, 1, vcc
	v_cmp_ne_u32_e32 vcc, 0, v10
	v_lshrrev_b32_e32 v20, v13, v17
	v_lshlrev_b32_e32 v8, v8, v19
	v_lshl_or_b32 v18, v14, 12, v10
	v_cndmask_b32_e64 v10, 0, 1, vcc
	v_lshlrev_b32_e32 v13, v13, v20
	v_cmp_ne_u32_e32 vcc, v8, v15
	v_add_u32_e32 v5, s2, v5
	v_lshl_or_b32 v6, v6, 9, v2
	v_cndmask_b32_e64 v8, 0, 1, vcc
	v_cmp_ne_u32_e32 vcc, v13, v17
	v_or_b32_e32 v8, v19, v8
	v_lshl_or_b32 v10, v10, 9, v2
	v_cndmask_b32_e64 v13, 0, 1, vcc
	v_cmp_gt_i32_e32 vcc, 1, v12
	v_or_b32_e32 v13, v20, v13
	v_and_b32_sdwa v7, v7, s11 dst_sel:DWORD dst_unused:UNUSED_PAD src0_sel:WORD_1 src1_sel:DWORD
	v_cndmask_b32_e32 v8, v16, v8, vcc
	v_cmp_gt_i32_e32 vcc, 1, v14
	v_and_b32_e32 v15, 7, v8
	v_cmp_eq_u32_e64 s[0:1], 3, v15
	v_cndmask_b32_e32 v13, v18, v13, vcc
	v_cmp_lt_i32_e32 vcc, 5, v15
	v_lshrrev_b32_e32 v8, 2, v8
	v_and_b32_e32 v16, 7, v13
	s_or_b64 vcc, s[0:1], vcc
	v_cmp_lt_i32_e64 s[2:3], 5, v16
	v_cmp_eq_u32_e64 s[4:5], 3, v16
	v_addc_co_u32_e32 v8, vcc, 0, v8, vcc
	v_lshrrev_b32_e32 v13, 2, v13
	s_or_b64 vcc, s[4:5], s[2:3]
	v_addc_co_u32_e32 v13, vcc, 0, v13, vcc
	v_cmp_gt_i32_e32 vcc, 31, v12
	v_lshrrev_b32_e32 v11, 16, v11
	s_nop 0
	v_cndmask_b32_e32 v8, v2, v8, vcc
	v_cmp_gt_i32_e32 vcc, 31, v14
	s_nop 1
	v_cndmask_b32_e32 v13, v2, v13, vcc
	v_cmp_eq_u32_e32 vcc, s10, v12
	s_nop 1
	v_cndmask_b32_e32 v6, v8, v6, vcc
	v_cmp_eq_u32_e32 vcc, s10, v14
	v_bitop3_b32 v6, v7, s16, v6 bitop3:0xc8
	s_nop 0
	v_cndmask_b32_e32 v8, v13, v10, vcc
	v_and_or_b32 v8, v11, s11, v8
	v_lshl_or_b32 v6, v8, 16, v6
	global_store_dword v[4:5], v6, off
	global_load_dword v3, v3, s[12:13] offset:724
	ds_read_b32 v4, v9 offset:724
	v_mov_b32_e32 v5, 0x2d4
	v_mad_u64_u32 v[0:1], s[0:1], s8, v5, v[0:1]
	v_add_u32_e32 v1, s9, v1
	s_waitcnt lgkmcnt(0)
	v_lshrrev_b32_e32 v6, 16, v4
	s_waitcnt vmcnt(0)
	v_mul_f16_sdwa v7, v6, v3 dst_sel:DWORD dst_unused:UNUSED_PAD src0_sel:DWORD src1_sel:WORD_1
	v_mul_f16_sdwa v8, v4, v3 dst_sel:DWORD dst_unused:UNUSED_PAD src0_sel:DWORD src1_sel:WORD_1
	v_fma_f16 v4, v4, v3, v7
	v_fma_f16 v3, v3, v6, -v8
	v_cvt_f32_f16_e32 v4, v4
	v_cvt_f32_f16_e32 v3, v3
	v_cvt_f64_f32_e32 v[4:5], v4
	v_cvt_f64_f32_e32 v[6:7], v3
	v_mul_f64 v[4:5], v[4:5], s[6:7]
	v_mul_f64 v[6:7], v[6:7], s[6:7]
	v_and_or_b32 v3, v5, s15, v4
	v_and_or_b32 v6, v7, s15, v6
	v_cmp_ne_u32_e32 vcc, 0, v3
	v_lshrrev_b32_e32 v4, 8, v5
	v_bfe_u32 v8, v5, 20, 11
	v_cndmask_b32_e64 v3, 0, 1, vcc
	v_cmp_ne_u32_e32 vcc, 0, v6
	v_lshrrev_b32_e32 v9, 8, v7
	v_bfe_u32 v10, v7, 20, 11
	v_sub_u32_e32 v11, 0x3f1, v8
	v_cndmask_b32_e64 v6, 0, 1, vcc
	v_and_or_b32 v3, v4, s14, v3
	v_sub_u32_e32 v12, 0x3f1, v10
	v_med3_i32 v4, v11, 0, 13
	v_and_or_b32 v6, v9, s14, v6
	v_or_b32_e32 v11, 0x1000, v3
	v_add_u32_e32 v8, 0xfffffc10, v8
	v_med3_i32 v9, v12, 0, 13
	v_cmp_ne_u32_e32 vcc, 0, v3
	v_or_b32_e32 v13, 0x1000, v6
	v_lshrrev_b32_e32 v15, v4, v11
	v_add_u32_e32 v10, 0xfffffc10, v10
	v_lshl_or_b32 v12, v8, 12, v3
	v_cndmask_b32_e64 v3, 0, 1, vcc
	v_cmp_ne_u32_e32 vcc, 0, v6
	v_lshrrev_b32_e32 v16, v9, v13
	v_lshlrev_b32_e32 v4, v4, v15
	v_lshl_or_b32 v14, v10, 12, v6
	v_cndmask_b32_e64 v6, 0, 1, vcc
	v_lshlrev_b32_e32 v9, v9, v16
	v_cmp_ne_u32_e32 vcc, v4, v11
	v_lshl_or_b32 v3, v3, 9, v2
	v_lshl_or_b32 v6, v6, 9, v2
	v_cndmask_b32_e64 v4, 0, 1, vcc
	v_cmp_ne_u32_e32 vcc, v9, v13
	v_or_b32_e32 v4, v15, v4
	v_and_b32_sdwa v5, v5, s11 dst_sel:DWORD dst_unused:UNUSED_PAD src0_sel:WORD_1 src1_sel:DWORD
	v_cndmask_b32_e64 v9, 0, 1, vcc
	v_cmp_gt_i32_e32 vcc, 1, v8
	v_or_b32_e32 v9, v16, v9
	v_lshrrev_b32_e32 v7, 16, v7
	v_cndmask_b32_e32 v4, v12, v4, vcc
	v_cmp_gt_i32_e32 vcc, 1, v10
	v_and_b32_e32 v11, 7, v4
	v_cmp_eq_u32_e64 s[0:1], 3, v11
	v_cndmask_b32_e32 v9, v14, v9, vcc
	v_cmp_lt_i32_e32 vcc, 5, v11
	v_lshrrev_b32_e32 v4, 2, v4
	v_and_b32_e32 v12, 7, v9
	s_or_b64 vcc, s[0:1], vcc
	v_cmp_lt_i32_e64 s[2:3], 5, v12
	v_cmp_eq_u32_e64 s[4:5], 3, v12
	v_addc_co_u32_e32 v4, vcc, 0, v4, vcc
	v_lshrrev_b32_e32 v9, 2, v9
	s_or_b64 vcc, s[4:5], s[2:3]
	v_addc_co_u32_e32 v9, vcc, 0, v9, vcc
	v_cmp_gt_i32_e32 vcc, 31, v8
	s_nop 1
	v_cndmask_b32_e32 v4, v2, v4, vcc
	v_cmp_gt_i32_e32 vcc, 31, v10
	s_nop 1
	v_cndmask_b32_e32 v2, v2, v9, vcc
	v_cmp_eq_u32_e32 vcc, s10, v8
	s_nop 1
	v_cndmask_b32_e32 v3, v4, v3, vcc
	v_cmp_eq_u32_e32 vcc, s10, v10
	v_bitop3_b32 v3, v5, s16, v3 bitop3:0xc8
	s_nop 0
	v_cndmask_b32_e32 v2, v2, v6, vcc
	v_and_or_b32 v2, v7, s11, v2
	v_lshl_or_b32 v2, v2, 16, v3
	global_store_dword v[0:1], v2, off
.LBB0_15:
	s_endpgm
	.section	.rodata,"a",@progbits
	.p2align	6, 0x0
	.amdhsa_kernel bluestein_single_fwd_len182_dim1_half_op_CI_CI
		.amdhsa_group_segment_fixed_size 2912
		.amdhsa_private_segment_fixed_size 0
		.amdhsa_kernarg_size 104
		.amdhsa_user_sgpr_count 2
		.amdhsa_user_sgpr_dispatch_ptr 0
		.amdhsa_user_sgpr_queue_ptr 0
		.amdhsa_user_sgpr_kernarg_segment_ptr 1
		.amdhsa_user_sgpr_dispatch_id 0
		.amdhsa_user_sgpr_kernarg_preload_length 0
		.amdhsa_user_sgpr_kernarg_preload_offset 0
		.amdhsa_user_sgpr_private_segment_size 0
		.amdhsa_uses_dynamic_stack 0
		.amdhsa_enable_private_segment 0
		.amdhsa_system_sgpr_workgroup_id_x 1
		.amdhsa_system_sgpr_workgroup_id_y 0
		.amdhsa_system_sgpr_workgroup_id_z 0
		.amdhsa_system_sgpr_workgroup_info 0
		.amdhsa_system_vgpr_workitem_id 0
		.amdhsa_next_free_vgpr 158
		.amdhsa_next_free_sgpr 29
		.amdhsa_accum_offset 160
		.amdhsa_reserve_vcc 1
		.amdhsa_float_round_mode_32 0
		.amdhsa_float_round_mode_16_64 0
		.amdhsa_float_denorm_mode_32 3
		.amdhsa_float_denorm_mode_16_64 3
		.amdhsa_dx10_clamp 1
		.amdhsa_ieee_mode 1
		.amdhsa_fp16_overflow 0
		.amdhsa_tg_split 0
		.amdhsa_exception_fp_ieee_invalid_op 0
		.amdhsa_exception_fp_denorm_src 0
		.amdhsa_exception_fp_ieee_div_zero 0
		.amdhsa_exception_fp_ieee_overflow 0
		.amdhsa_exception_fp_ieee_underflow 0
		.amdhsa_exception_fp_ieee_inexact 0
		.amdhsa_exception_int_div_zero 0
	.end_amdhsa_kernel
	.text
.Lfunc_end0:
	.size	bluestein_single_fwd_len182_dim1_half_op_CI_CI, .Lfunc_end0-bluestein_single_fwd_len182_dim1_half_op_CI_CI
                                        ; -- End function
	.section	.AMDGPU.csdata,"",@progbits
; Kernel info:
; codeLenInByte = 35664
; NumSgprs: 35
; NumVgprs: 158
; NumAgprs: 0
; TotalNumVgprs: 158
; ScratchSize: 0
; MemoryBound: 0
; FloatMode: 240
; IeeeMode: 1
; LDSByteSize: 2912 bytes/workgroup (compile time only)
; SGPRBlocks: 4
; VGPRBlocks: 19
; NumSGPRsForWavesPerEU: 35
; NumVGPRsForWavesPerEU: 158
; AccumOffset: 160
; Occupancy: 3
; WaveLimiterHint : 1
; COMPUTE_PGM_RSRC2:SCRATCH_EN: 0
; COMPUTE_PGM_RSRC2:USER_SGPR: 2
; COMPUTE_PGM_RSRC2:TRAP_HANDLER: 0
; COMPUTE_PGM_RSRC2:TGID_X_EN: 1
; COMPUTE_PGM_RSRC2:TGID_Y_EN: 0
; COMPUTE_PGM_RSRC2:TGID_Z_EN: 0
; COMPUTE_PGM_RSRC2:TIDIG_COMP_CNT: 0
; COMPUTE_PGM_RSRC3_GFX90A:ACCUM_OFFSET: 39
; COMPUTE_PGM_RSRC3_GFX90A:TG_SPLIT: 0
	.text
	.p2alignl 6, 3212836864
	.fill 256, 4, 3212836864
	.type	__hip_cuid_24b67110b5e11d4c,@object ; @__hip_cuid_24b67110b5e11d4c
	.section	.bss,"aw",@nobits
	.globl	__hip_cuid_24b67110b5e11d4c
__hip_cuid_24b67110b5e11d4c:
	.byte	0                               ; 0x0
	.size	__hip_cuid_24b67110b5e11d4c, 1

	.ident	"AMD clang version 19.0.0git (https://github.com/RadeonOpenCompute/llvm-project roc-6.4.0 25133 c7fe45cf4b819c5991fe208aaa96edf142730f1d)"
	.section	".note.GNU-stack","",@progbits
	.addrsig
	.addrsig_sym __hip_cuid_24b67110b5e11d4c
	.amdgpu_metadata
---
amdhsa.kernels:
  - .agpr_count:     0
    .args:
      - .actual_access:  read_only
        .address_space:  global
        .offset:         0
        .size:           8
        .value_kind:     global_buffer
      - .actual_access:  read_only
        .address_space:  global
        .offset:         8
        .size:           8
        .value_kind:     global_buffer
      - .actual_access:  read_only
        .address_space:  global
        .offset:         16
        .size:           8
        .value_kind:     global_buffer
      - .actual_access:  read_only
        .address_space:  global
        .offset:         24
        .size:           8
        .value_kind:     global_buffer
      - .actual_access:  read_only
        .address_space:  global
        .offset:         32
        .size:           8
        .value_kind:     global_buffer
      - .offset:         40
        .size:           8
        .value_kind:     by_value
      - .address_space:  global
        .offset:         48
        .size:           8
        .value_kind:     global_buffer
      - .address_space:  global
        .offset:         56
        .size:           8
        .value_kind:     global_buffer
      - .address_space:  global
        .offset:         64
        .size:           8
        .value_kind:     global_buffer
      - .address_space:  global
        .offset:         72
        .size:           8
        .value_kind:     global_buffer
      - .offset:         80
        .size:           4
        .value_kind:     by_value
      - .address_space:  global
        .offset:         88
        .size:           8
        .value_kind:     global_buffer
      - .address_space:  global
        .offset:         96
        .size:           8
        .value_kind:     global_buffer
    .group_segment_fixed_size: 2912
    .kernarg_segment_align: 8
    .kernarg_segment_size: 104
    .language:       OpenCL C
    .language_version:
      - 2
      - 0
    .max_flat_workgroup_size: 52
    .name:           bluestein_single_fwd_len182_dim1_half_op_CI_CI
    .private_segment_fixed_size: 0
    .sgpr_count:     35
    .sgpr_spill_count: 0
    .symbol:         bluestein_single_fwd_len182_dim1_half_op_CI_CI.kd
    .uniform_work_group_size: 1
    .uses_dynamic_stack: false
    .vgpr_count:     158
    .vgpr_spill_count: 0
    .wavefront_size: 64
amdhsa.target:   amdgcn-amd-amdhsa--gfx950
amdhsa.version:
  - 1
  - 2
...

	.end_amdgpu_metadata
